;; amdgpu-corpus repo=ROCm/rocFFT kind=compiled arch=gfx1201 opt=O3
	.text
	.amdgcn_target "amdgcn-amd-amdhsa--gfx1201"
	.amdhsa_code_object_version 6
	.protected	fft_rtc_back_len480_factors_10_8_6_wgs_64_tpt_16_halfLds_half_ip_CI_unitstride_sbrr_dirReg ; -- Begin function fft_rtc_back_len480_factors_10_8_6_wgs_64_tpt_16_halfLds_half_ip_CI_unitstride_sbrr_dirReg
	.globl	fft_rtc_back_len480_factors_10_8_6_wgs_64_tpt_16_halfLds_half_ip_CI_unitstride_sbrr_dirReg
	.p2align	8
	.type	fft_rtc_back_len480_factors_10_8_6_wgs_64_tpt_16_halfLds_half_ip_CI_unitstride_sbrr_dirReg,@function
fft_rtc_back_len480_factors_10_8_6_wgs_64_tpt_16_halfLds_half_ip_CI_unitstride_sbrr_dirReg: ; @fft_rtc_back_len480_factors_10_8_6_wgs_64_tpt_16_halfLds_half_ip_CI_unitstride_sbrr_dirReg
; %bb.0:
	s_clause 0x2
	s_load_b128 s[4:7], s[0:1], 0x0
	s_load_b64 s[8:9], s[0:1], 0x50
	s_load_b64 s[10:11], s[0:1], 0x18
	v_lshrrev_b32_e32 v9, 4, v0
	v_mov_b32_e32 v3, 0
	v_mov_b32_e32 v1, 0
	;; [unrolled: 1-line block ×3, first 2 shown]
	s_delay_alu instid0(VALU_DEP_4) | instskip(NEXT) | instid1(VALU_DEP_4)
	v_lshl_or_b32 v5, ttmp9, 2, v9
	v_mov_b32_e32 v6, v3
	s_wait_kmcnt 0x0
	v_cmp_lt_u64_e64 s2, s[6:7], 2
	s_delay_alu instid0(VALU_DEP_1)
	s_and_b32 vcc_lo, exec_lo, s2
	s_cbranch_vccnz .LBB0_8
; %bb.1:
	s_load_b64 s[2:3], s[0:1], 0x10
	v_mov_b32_e32 v1, 0
	v_mov_b32_e32 v2, 0
	s_add_nc_u64 s[12:13], s[10:11], 8
	s_mov_b64 s[14:15], 1
	s_wait_kmcnt 0x0
	s_add_nc_u64 s[16:17], s[2:3], 8
	s_mov_b32 s3, 0
.LBB0_2:                                ; =>This Inner Loop Header: Depth=1
	s_load_b64 s[18:19], s[16:17], 0x0
                                        ; implicit-def: $vgpr7_vgpr8
	s_mov_b32 s2, exec_lo
	s_wait_kmcnt 0x0
	v_or_b32_e32 v4, s19, v6
	s_delay_alu instid0(VALU_DEP_1)
	v_cmpx_ne_u64_e32 0, v[3:4]
	s_wait_alu 0xfffe
	s_xor_b32 s20, exec_lo, s2
	s_cbranch_execz .LBB0_4
; %bb.3:                                ;   in Loop: Header=BB0_2 Depth=1
	s_cvt_f32_u32 s2, s18
	s_cvt_f32_u32 s21, s19
	s_sub_nc_u64 s[24:25], 0, s[18:19]
	s_wait_alu 0xfffe
	s_delay_alu instid0(SALU_CYCLE_1) | instskip(SKIP_1) | instid1(SALU_CYCLE_2)
	s_fmamk_f32 s2, s21, 0x4f800000, s2
	s_wait_alu 0xfffe
	v_s_rcp_f32 s2, s2
	s_delay_alu instid0(TRANS32_DEP_1) | instskip(SKIP_1) | instid1(SALU_CYCLE_2)
	s_mul_f32 s2, s2, 0x5f7ffffc
	s_wait_alu 0xfffe
	s_mul_f32 s21, s2, 0x2f800000
	s_wait_alu 0xfffe
	s_delay_alu instid0(SALU_CYCLE_2) | instskip(SKIP_1) | instid1(SALU_CYCLE_2)
	s_trunc_f32 s21, s21
	s_wait_alu 0xfffe
	s_fmamk_f32 s2, s21, 0xcf800000, s2
	s_cvt_u32_f32 s23, s21
	s_wait_alu 0xfffe
	s_delay_alu instid0(SALU_CYCLE_1) | instskip(SKIP_1) | instid1(SALU_CYCLE_2)
	s_cvt_u32_f32 s22, s2
	s_wait_alu 0xfffe
	s_mul_u64 s[26:27], s[24:25], s[22:23]
	s_wait_alu 0xfffe
	s_mul_hi_u32 s29, s22, s27
	s_mul_i32 s28, s22, s27
	s_mul_hi_u32 s2, s22, s26
	s_mul_i32 s30, s23, s26
	s_wait_alu 0xfffe
	s_add_nc_u64 s[28:29], s[2:3], s[28:29]
	s_mul_hi_u32 s21, s23, s26
	s_mul_hi_u32 s31, s23, s27
	s_add_co_u32 s2, s28, s30
	s_wait_alu 0xfffe
	s_add_co_ci_u32 s2, s29, s21
	s_mul_i32 s26, s23, s27
	s_add_co_ci_u32 s27, s31, 0
	s_wait_alu 0xfffe
	s_add_nc_u64 s[26:27], s[2:3], s[26:27]
	s_wait_alu 0xfffe
	v_add_co_u32 v4, s2, s22, s26
	s_delay_alu instid0(VALU_DEP_1) | instskip(SKIP_1) | instid1(VALU_DEP_1)
	s_cmp_lg_u32 s2, 0
	s_add_co_ci_u32 s23, s23, s27
	v_readfirstlane_b32 s22, v4
	s_wait_alu 0xfffe
	s_delay_alu instid0(VALU_DEP_1)
	s_mul_u64 s[24:25], s[24:25], s[22:23]
	s_wait_alu 0xfffe
	s_mul_hi_u32 s27, s22, s25
	s_mul_i32 s26, s22, s25
	s_mul_hi_u32 s2, s22, s24
	s_mul_i32 s28, s23, s24
	s_wait_alu 0xfffe
	s_add_nc_u64 s[26:27], s[2:3], s[26:27]
	s_mul_hi_u32 s21, s23, s24
	s_mul_hi_u32 s22, s23, s25
	s_wait_alu 0xfffe
	s_add_co_u32 s2, s26, s28
	s_add_co_ci_u32 s2, s27, s21
	s_mul_i32 s24, s23, s25
	s_add_co_ci_u32 s25, s22, 0
	s_wait_alu 0xfffe
	s_add_nc_u64 s[24:25], s[2:3], s[24:25]
	s_wait_alu 0xfffe
	v_add_co_u32 v4, s2, v4, s24
	s_delay_alu instid0(VALU_DEP_1) | instskip(SKIP_1) | instid1(VALU_DEP_1)
	s_cmp_lg_u32 s2, 0
	s_add_co_ci_u32 s2, s23, s25
	v_mul_hi_u32 v14, v5, v4
	s_wait_alu 0xfffe
	v_mad_co_u64_u32 v[7:8], null, v5, s2, 0
	v_mad_co_u64_u32 v[10:11], null, v6, v4, 0
	;; [unrolled: 1-line block ×3, first 2 shown]
	s_delay_alu instid0(VALU_DEP_3) | instskip(SKIP_1) | instid1(VALU_DEP_4)
	v_add_co_u32 v4, vcc_lo, v14, v7
	s_wait_alu 0xfffd
	v_add_co_ci_u32_e32 v7, vcc_lo, 0, v8, vcc_lo
	s_delay_alu instid0(VALU_DEP_2) | instskip(SKIP_1) | instid1(VALU_DEP_2)
	v_add_co_u32 v4, vcc_lo, v4, v10
	s_wait_alu 0xfffd
	v_add_co_ci_u32_e32 v4, vcc_lo, v7, v11, vcc_lo
	s_wait_alu 0xfffd
	v_add_co_ci_u32_e32 v7, vcc_lo, 0, v13, vcc_lo
	s_delay_alu instid0(VALU_DEP_2) | instskip(SKIP_1) | instid1(VALU_DEP_2)
	v_add_co_u32 v4, vcc_lo, v4, v12
	s_wait_alu 0xfffd
	v_add_co_ci_u32_e32 v10, vcc_lo, 0, v7, vcc_lo
	s_delay_alu instid0(VALU_DEP_2) | instskip(SKIP_1) | instid1(VALU_DEP_3)
	v_mul_lo_u32 v11, s19, v4
	v_mad_co_u64_u32 v[7:8], null, s18, v4, 0
	v_mul_lo_u32 v12, s18, v10
	s_delay_alu instid0(VALU_DEP_2) | instskip(NEXT) | instid1(VALU_DEP_2)
	v_sub_co_u32 v7, vcc_lo, v5, v7
	v_add3_u32 v8, v8, v12, v11
	s_delay_alu instid0(VALU_DEP_1) | instskip(SKIP_1) | instid1(VALU_DEP_1)
	v_sub_nc_u32_e32 v11, v6, v8
	s_wait_alu 0xfffd
	v_subrev_co_ci_u32_e64 v11, s2, s19, v11, vcc_lo
	v_add_co_u32 v12, s2, v4, 2
	s_wait_alu 0xf1ff
	v_add_co_ci_u32_e64 v13, s2, 0, v10, s2
	v_sub_co_u32 v14, s2, v7, s18
	v_sub_co_ci_u32_e32 v8, vcc_lo, v6, v8, vcc_lo
	s_wait_alu 0xf1ff
	v_subrev_co_ci_u32_e64 v11, s2, 0, v11, s2
	s_delay_alu instid0(VALU_DEP_3) | instskip(NEXT) | instid1(VALU_DEP_3)
	v_cmp_le_u32_e32 vcc_lo, s18, v14
	v_cmp_eq_u32_e64 s2, s19, v8
	s_wait_alu 0xfffd
	v_cndmask_b32_e64 v14, 0, -1, vcc_lo
	v_cmp_le_u32_e32 vcc_lo, s19, v11
	s_wait_alu 0xfffd
	v_cndmask_b32_e64 v15, 0, -1, vcc_lo
	v_cmp_le_u32_e32 vcc_lo, s18, v7
	;; [unrolled: 3-line block ×3, first 2 shown]
	s_wait_alu 0xfffd
	v_cndmask_b32_e64 v16, 0, -1, vcc_lo
	v_cmp_eq_u32_e32 vcc_lo, s19, v11
	s_wait_alu 0xf1ff
	s_delay_alu instid0(VALU_DEP_2)
	v_cndmask_b32_e64 v7, v16, v7, s2
	s_wait_alu 0xfffd
	v_cndmask_b32_e32 v11, v15, v14, vcc_lo
	v_add_co_u32 v14, vcc_lo, v4, 1
	s_wait_alu 0xfffd
	v_add_co_ci_u32_e32 v15, vcc_lo, 0, v10, vcc_lo
	s_delay_alu instid0(VALU_DEP_3) | instskip(SKIP_1) | instid1(VALU_DEP_2)
	v_cmp_ne_u32_e32 vcc_lo, 0, v11
	s_wait_alu 0xfffd
	v_dual_cndmask_b32 v8, v15, v13 :: v_dual_cndmask_b32 v11, v14, v12
	v_cmp_ne_u32_e32 vcc_lo, 0, v7
	s_wait_alu 0xfffd
	s_delay_alu instid0(VALU_DEP_2)
	v_dual_cndmask_b32 v8, v10, v8 :: v_dual_cndmask_b32 v7, v4, v11
.LBB0_4:                                ;   in Loop: Header=BB0_2 Depth=1
	s_wait_alu 0xfffe
	s_and_not1_saveexec_b32 s2, s20
	s_cbranch_execz .LBB0_6
; %bb.5:                                ;   in Loop: Header=BB0_2 Depth=1
	v_cvt_f32_u32_e32 v4, s18
	s_sub_co_i32 s20, 0, s18
	s_delay_alu instid0(VALU_DEP_1) | instskip(NEXT) | instid1(TRANS32_DEP_1)
	v_rcp_iflag_f32_e32 v4, v4
	v_mul_f32_e32 v4, 0x4f7ffffe, v4
	s_delay_alu instid0(VALU_DEP_1) | instskip(SKIP_1) | instid1(VALU_DEP_1)
	v_cvt_u32_f32_e32 v4, v4
	s_wait_alu 0xfffe
	v_mul_lo_u32 v7, s20, v4
	s_delay_alu instid0(VALU_DEP_1) | instskip(NEXT) | instid1(VALU_DEP_1)
	v_mul_hi_u32 v7, v4, v7
	v_add_nc_u32_e32 v4, v4, v7
	s_delay_alu instid0(VALU_DEP_1) | instskip(NEXT) | instid1(VALU_DEP_1)
	v_mul_hi_u32 v4, v5, v4
	v_mul_lo_u32 v7, v4, s18
	v_add_nc_u32_e32 v8, 1, v4
	s_delay_alu instid0(VALU_DEP_2) | instskip(NEXT) | instid1(VALU_DEP_1)
	v_sub_nc_u32_e32 v7, v5, v7
	v_subrev_nc_u32_e32 v10, s18, v7
	v_cmp_le_u32_e32 vcc_lo, s18, v7
	s_wait_alu 0xfffd
	s_delay_alu instid0(VALU_DEP_2) | instskip(NEXT) | instid1(VALU_DEP_1)
	v_dual_cndmask_b32 v7, v7, v10 :: v_dual_cndmask_b32 v4, v4, v8
	v_cmp_le_u32_e32 vcc_lo, s18, v7
	s_delay_alu instid0(VALU_DEP_2) | instskip(SKIP_1) | instid1(VALU_DEP_1)
	v_add_nc_u32_e32 v8, 1, v4
	s_wait_alu 0xfffd
	v_dual_cndmask_b32 v7, v4, v8 :: v_dual_mov_b32 v8, v3
.LBB0_6:                                ;   in Loop: Header=BB0_2 Depth=1
	s_wait_alu 0xfffe
	s_or_b32 exec_lo, exec_lo, s2
	s_load_b64 s[20:21], s[12:13], 0x0
	s_delay_alu instid0(VALU_DEP_1)
	v_mul_lo_u32 v4, v8, s18
	v_mul_lo_u32 v12, v7, s19
	v_mad_co_u64_u32 v[10:11], null, v7, s18, 0
	s_add_nc_u64 s[14:15], s[14:15], 1
	s_add_nc_u64 s[12:13], s[12:13], 8
	s_wait_alu 0xfffe
	v_cmp_ge_u64_e64 s2, s[14:15], s[6:7]
	s_add_nc_u64 s[16:17], s[16:17], 8
	s_delay_alu instid0(VALU_DEP_2) | instskip(NEXT) | instid1(VALU_DEP_3)
	v_add3_u32 v4, v11, v12, v4
	v_sub_co_u32 v5, vcc_lo, v5, v10
	s_wait_alu 0xfffd
	s_delay_alu instid0(VALU_DEP_2) | instskip(SKIP_3) | instid1(VALU_DEP_2)
	v_sub_co_ci_u32_e32 v4, vcc_lo, v6, v4, vcc_lo
	s_and_b32 vcc_lo, exec_lo, s2
	s_wait_kmcnt 0x0
	v_mul_lo_u32 v6, s21, v5
	v_mul_lo_u32 v4, s20, v4
	v_mad_co_u64_u32 v[1:2], null, s20, v5, v[1:2]
	s_delay_alu instid0(VALU_DEP_1)
	v_add3_u32 v2, v6, v2, v4
	s_wait_alu 0xfffe
	s_cbranch_vccnz .LBB0_9
; %bb.7:                                ;   in Loop: Header=BB0_2 Depth=1
	v_dual_mov_b32 v5, v7 :: v_dual_mov_b32 v6, v8
	s_branch .LBB0_2
.LBB0_8:
	v_dual_mov_b32 v8, v6 :: v_dual_mov_b32 v7, v5
.LBB0_9:
	s_lshl_b64 s[2:3], s[6:7], 3
	v_and_b32_e32 v21, 15, v0
	s_wait_alu 0xfffe
	s_add_nc_u64 s[2:3], s[10:11], s[2:3]
	s_load_b64 s[2:3], s[2:3], 0x0
	s_load_b64 s[0:1], s[0:1], 0x20
	v_or_b32_e32 v19, 16, v21
	v_or_b32_e32 v20, 32, v21
	;; [unrolled: 1-line block ×3, first 2 shown]
	s_wait_kmcnt 0x0
	v_mul_lo_u32 v3, s2, v8
	v_mul_lo_u32 v4, s3, v7
	v_mad_co_u64_u32 v[0:1], null, s2, v7, v[1:2]
	v_cmp_gt_u64_e32 vcc_lo, s[0:1], v[7:8]
	v_cmp_le_u64_e64 s0, s[0:1], v[7:8]
	s_delay_alu instid0(VALU_DEP_3) | instskip(NEXT) | instid1(VALU_DEP_2)
	v_add3_u32 v1, v4, v1, v3
	s_and_saveexec_b32 s1, s0
	s_wait_alu 0xfffe
	s_xor_b32 s0, exec_lo, s1
; %bb.10:
	v_or_b32_e32 v19, 16, v21
	v_or_b32_e32 v20, 32, v21
	;; [unrolled: 1-line block ×3, first 2 shown]
; %bb.11:
	s_wait_alu 0xfffe
	s_or_saveexec_b32 s1, s0
	v_lshlrev_b64_e32 v[16:17], 2, v[0:1]
	v_lshlrev_b32_e32 v18, 2, v21
                                        ; implicit-def: $vgpr46
                                        ; implicit-def: $vgpr33
                                        ; implicit-def: $vgpr76
                                        ; implicit-def: $vgpr3
                                        ; implicit-def: $vgpr77
                                        ; implicit-def: $vgpr49
                                        ; implicit-def: $vgpr78
                                        ; implicit-def: $vgpr37
                                        ; implicit-def: $vgpr79
                                        ; implicit-def: $vgpr47
                                        ; implicit-def: $vgpr80
                                        ; implicit-def: $vgpr36
                                        ; implicit-def: $vgpr83
                                        ; implicit-def: $vgpr53
                                        ; implicit-def: $vgpr82
                                        ; implicit-def: $vgpr38
                                        ; implicit-def: $vgpr84
                                        ; implicit-def: $vgpr68
                                        ; implicit-def: $vgpr81
                                        ; implicit-def: $vgpr39
                                        ; implicit-def: $vgpr13
                                        ; implicit-def: $vgpr27
                                        ; implicit-def: $vgpr52
                                        ; implicit-def: $vgpr1
                                        ; implicit-def: $vgpr54
                                        ; implicit-def: $vgpr35
                                        ; implicit-def: $vgpr56
                                        ; implicit-def: $vgpr31
                                        ; implicit-def: $vgpr58
                                        ; implicit-def: $vgpr42
                                        ; implicit-def: $vgpr57
                                        ; implicit-def: $vgpr30
                                        ; implicit-def: $vgpr60
                                        ; implicit-def: $vgpr45
                                        ; implicit-def: $vgpr59
                                        ; implicit-def: $vgpr32
                                        ; implicit-def: $vgpr63
                                        ; implicit-def: $vgpr50
                                        ; implicit-def: $vgpr55
                                        ; implicit-def: $vgpr29
                                        ; implicit-def: $vgpr2
                                        ; implicit-def: $vgpr23
                                        ; implicit-def: $vgpr5
                                        ; implicit-def: $vgpr0
                                        ; implicit-def: $vgpr14
                                        ; implicit-def: $vgpr7
                                        ; implicit-def: $vgpr10
                                        ; implicit-def: $vgpr25
                                        ; implicit-def: $vgpr15
                                        ; implicit-def: $vgpr4
                                        ; implicit-def: $vgpr11
                                        ; implicit-def: $vgpr24
                                        ; implicit-def: $vgpr34
                                        ; implicit-def: $vgpr8
                                        ; implicit-def: $vgpr12
                                        ; implicit-def: $vgpr26
                                        ; implicit-def: $vgpr41
                                        ; implicit-def: $vgpr43
                                        ; implicit-def: $vgpr6
                                        ; implicit-def: $vgpr28
	s_wait_alu 0xfffe
	s_xor_b32 exec_lo, exec_lo, s1
	s_cbranch_execz .LBB0_13
; %bb.12:
	s_delay_alu instid0(VALU_DEP_2) | instskip(SKIP_2) | instid1(VALU_DEP_2)
	v_add_co_u32 v0, s0, s8, v16
	s_wait_alu 0xf1ff
	v_add_co_ci_u32_e64 v1, s0, s9, v17, s0
	v_add_co_u32 v5, s0, v0, v18
	s_wait_alu 0xf1ff
	s_delay_alu instid0(VALU_DEP_2)
	v_add_co_ci_u32_e64 v6, s0, 0, v1, s0
	s_clause 0x1d
	global_load_b32 v3, v[5:6], off offset:192
	global_load_b32 v49, v[5:6], off offset:384
	global_load_b32 v33, v[5:6], off
	global_load_b32 v37, v[5:6], off offset:576
	global_load_b32 v47, v[5:6], off offset:768
	;; [unrolled: 1-line block ×27, first 2 shown]
	s_wait_loadcnt 0x1d
	v_lshrrev_b32_e32 v76, 16, v3
	s_wait_loadcnt 0x1c
	v_lshrrev_b32_e32 v77, 16, v49
	;; [unrolled: 2-line block ×30, first 2 shown]
.LBB0_13:
	s_or_b32 exec_lo, exec_lo, s1
	v_add_f16_e32 v40, v47, v53
	v_sub_f16_e32 v48, v77, v84
	v_add_f16_e32 v64, v49, v68
	v_add_f16_e32 v44, v33, v49
	v_sub_f16_e32 v51, v79, v83
	v_fma_f16 v40, -0.5, v40, v33
	v_add_f16_e32 v67, v3, v37
	v_fmac_f16_e32 v33, -0.5, v64
	v_sub_f16_e32 v61, v49, v47
	v_sub_f16_e32 v62, v68, v53
	v_fmamk_f16 v65, v48, 0xbb9c, v40
	v_fmac_f16_e32 v40, 0x3b9c, v48
	v_fmamk_f16 v64, v51, 0x3b9c, v33
	v_fmac_f16_e32 v33, 0xbb9c, v51
	v_add_f16_e32 v61, v61, v62
	v_fmac_f16_e32 v65, 0xb8b4, v51
	v_fmac_f16_e32 v40, 0x38b4, v51
	v_add_f16_e32 v51, v67, v36
	v_add_f16_e32 v62, v36, v38
	v_fmac_f16_e32 v64, 0xb8b4, v48
	v_fmac_f16_e32 v33, 0x38b4, v48
	;; [unrolled: 1-line block ×3, first 2 shown]
	v_add_f16_e32 v48, v51, v38
	v_add_f16_e32 v51, v37, v39
	v_fmac_f16_e32 v40, 0x34f2, v61
	v_sub_f16_e32 v61, v47, v49
	v_sub_f16_e32 v66, v53, v68
	v_fma_f16 v91, -0.5, v62, v3
	v_fmac_f16_e32 v3, -0.5, v51
	v_add_f16_e32 v51, v80, v82
	v_sub_f16_e32 v62, v78, v81
	v_add_f16_e32 v61, v61, v66
	v_sub_f16_e32 v67, v37, v36
	v_sub_f16_e32 v69, v39, v38
	v_fma_f16 v93, -0.5, v51, v76
	v_add_f16_e32 v51, v78, v81
	v_fmamk_f16 v92, v62, 0xbb9c, v91
	v_sub_f16_e32 v66, v80, v82
	v_add_f16_e32 v67, v67, v69
	v_fmac_f16_e32 v64, 0x34f2, v61
	v_fmac_f16_e32 v33, 0x34f2, v61
	;; [unrolled: 1-line block ×3, first 2 shown]
	v_sub_f16_e32 v61, v36, v37
	v_sub_f16_e32 v69, v38, v39
	;; [unrolled: 1-line block ×3, first 2 shown]
	v_fma_f16 v95, -0.5, v51, v76
	v_fmac_f16_e32 v92, 0xb8b4, v66
	v_add_f16_e32 v48, v48, v39
	v_fmamk_f16 v94, v66, 0x3b9c, v3
	v_sub_f16_e32 v37, v37, v39
	v_fmac_f16_e32 v91, 0x38b4, v66
	v_add_f16_e32 v39, v61, v69
	v_fmac_f16_e32 v3, 0xbb9c, v66
	v_sub_f16_e32 v38, v78, v80
	v_sub_f16_e32 v51, v81, v82
	v_fmamk_f16 v96, v36, 0xbb9c, v95
	v_sub_f16_e32 v61, v80, v78
	v_sub_f16_e32 v66, v82, v81
	v_fmac_f16_e32 v95, 0x3b9c, v36
	v_add_f16_e32 v44, v44, v47
	v_fmamk_f16 v97, v37, 0x3b9c, v93
	v_fmac_f16_e32 v93, 0xbb9c, v37
	v_add_f16_e32 v38, v38, v51
	v_add_f16_e32 v51, v61, v66
	v_fmac_f16_e32 v95, 0xb8b4, v37
	v_add_f16_e32 v44, v44, v53
	v_fmac_f16_e32 v97, 0x38b4, v36
	v_fmac_f16_e32 v96, 0x38b4, v37
	;; [unrolled: 1-line block ×5, first 2 shown]
	v_add_f16_e32 v44, v44, v68
	v_fmac_f16_e32 v94, 0xb8b4, v62
	v_fmac_f16_e32 v97, 0x34f2, v38
	;; [unrolled: 1-line block ×5, first 2 shown]
	v_mul_f16_e32 v38, 0xbb9c, v95
	v_add_f16_e32 v70, v27, v35
	v_fmac_f16_e32 v92, 0x34f2, v67
	v_fmac_f16_e32 v94, 0x34f2, v39
	v_mul_f16_e32 v36, 0xb8b4, v97
	v_mul_f16_e32 v37, 0xbb9c, v96
	v_add_f16_e32 v51, v44, v48
	v_fmac_f16_e32 v38, 0xb4f2, v3
	v_add_f16_e32 v62, v42, v45
	v_sub_f16_e32 v44, v44, v48
	v_add_f16_e32 v48, v70, v42
	v_fmac_f16_e32 v91, 0x34f2, v67
	v_fmac_f16_e32 v36, 0x3a79, v92
	;; [unrolled: 1-line block ×3, first 2 shown]
	v_add_f16_e32 v67, v33, v38
	v_fma_f16 v62, -0.5, v62, v27
	v_sub_f16_e32 v71, v54, v63
	v_sub_f16_e32 v33, v33, v38
	v_add_f16_e32 v38, v48, v45
	v_add_f16_e32 v48, v35, v50
	v_mul_f16_e32 v39, 0xb8b4, v93
	v_add_f16_e32 v61, v65, v36
	v_add_f16_e32 v66, v64, v37
	v_sub_f16_e32 v36, v65, v36
	v_sub_f16_e32 v37, v64, v37
	v_fmamk_f16 v64, v71, 0xbb9c, v62
	v_sub_f16_e32 v65, v58, v60
	v_sub_f16_e32 v70, v35, v42
	v_sub_f16_e32 v72, v50, v45
	v_fmac_f16_e32 v62, 0x3b9c, v71
	v_fmac_f16_e32 v27, -0.5, v48
	v_fmac_f16_e32 v39, 0xba79, v91
	v_fmac_f16_e32 v64, 0xb8b4, v65
	v_add_f16_e32 v70, v70, v72
	v_fmac_f16_e32 v62, 0x38b4, v65
	v_fmamk_f16 v48, v65, 0x3b9c, v27
	v_sub_f16_e32 v72, v42, v35
	v_sub_f16_e32 v73, v45, v50
	v_fmac_f16_e32 v27, 0xbb9c, v65
	v_add_f16_e32 v69, v40, v39
	v_sub_f16_e32 v39, v40, v39
	v_fmac_f16_e32 v64, 0x34f2, v70
	v_add_f16_e32 v40, v30, v32
	v_fmac_f16_e32 v62, 0x34f2, v70
	v_fmac_f16_e32 v48, 0xb8b4, v71
	v_add_f16_e32 v70, v72, v73
	v_sub_f16_e32 v73, v31, v30
	v_sub_f16_e32 v74, v29, v32
	v_fmac_f16_e32 v27, 0x38b4, v71
	v_add_f16_e32 v71, v31, v29
	v_fma_f16 v98, -0.5, v40, v1
	v_sub_f16_e32 v40, v56, v55
	v_add_f16_e32 v65, v1, v31
	v_add_f16_e32 v73, v73, v74
	v_fmac_f16_e32 v48, 0x34f2, v70
	v_fmac_f16_e32 v27, 0x34f2, v70
	v_fmac_f16_e32 v1, -0.5, v71
	v_add_f16_e32 v70, v57, v59
	v_sub_f16_e32 v71, v30, v31
	v_sub_f16_e32 v74, v32, v29
	v_fmamk_f16 v99, v40, 0xbb9c, v98
	v_sub_f16_e32 v72, v57, v59
	v_fmac_f16_e32 v98, 0x3b9c, v40
	v_fma_f16 v100, -0.5, v70, v52
	v_add_f16_e32 v70, v71, v74
	v_add_f16_e32 v71, v56, v55
	;; [unrolled: 1-line block ×3, first 2 shown]
	v_fmac_f16_e32 v99, 0xb8b4, v72
	v_fmac_f16_e32 v98, 0x38b4, v72
	v_sub_f16_e32 v30, v30, v32
	v_fma_f16 v102, -0.5, v71, v52
	v_add_f16_e32 v65, v65, v32
	v_fmac_f16_e32 v99, 0x34f2, v73
	v_fmamk_f16 v101, v72, 0x3b9c, v1
	v_sub_f16_e32 v31, v31, v29
	v_fmac_f16_e32 v98, 0x34f2, v73
	v_fmac_f16_e32 v1, 0xbb9c, v72
	v_sub_f16_e32 v32, v56, v57
	v_sub_f16_e32 v71, v55, v59
	v_fmamk_f16 v103, v30, 0xbb9c, v102
	v_sub_f16_e32 v72, v57, v56
	v_sub_f16_e32 v73, v59, v55
	v_fmac_f16_e32 v102, 0x3b9c, v30
	v_fmamk_f16 v104, v31, 0x3b9c, v100
	v_fmac_f16_e32 v100, 0xbb9c, v31
	v_add_f16_e32 v32, v32, v71
	v_fmac_f16_e32 v103, 0x38b4, v31
	v_add_f16_e32 v71, v72, v73
	v_fmac_f16_e32 v102, 0xb8b4, v31
	v_fmac_f16_e32 v101, 0xb8b4, v40
	;; [unrolled: 1-line block ×11, first 2 shown]
	v_mul_f16_e32 v31, 0xbb9c, v103
	v_mul_f16_e32 v32, 0xbb9c, v102
	;; [unrolled: 1-line block ×4, first 2 shown]
	v_add_f16_e32 v74, v4, v8
	v_fmac_f16_e32 v31, 0x34f2, v101
	v_fmac_f16_e32 v32, 0xb4f2, v1
	v_add_f16_e32 v38, v38, v50
	v_add_f16_e32 v29, v65, v29
	v_fmac_f16_e32 v30, 0x3a79, v99
	v_fmac_f16_e32 v40, 0xba79, v98
	v_add_f16_e32 v71, v48, v31
	v_add_f16_e32 v72, v27, v32
	v_sub_f16_e32 v31, v48, v31
	v_sub_f16_e32 v32, v27, v32
	v_fma_f16 v48, -0.5, v74, v23
	v_sub_f16_e32 v27, v14, v41
	v_add_f16_e32 v65, v38, v29
	v_add_f16_e32 v70, v64, v30
	;; [unrolled: 1-line block ×3, first 2 shown]
	v_sub_f16_e32 v29, v38, v29
	v_sub_f16_e32 v64, v64, v30
	;; [unrolled: 1-line block ×4, first 2 shown]
	v_add_f16_e32 v74, v7, v43
	v_sub_f16_e32 v40, v62, v40
	v_fmamk_f16 v62, v27, 0xbb9c, v48
	v_sub_f16_e32 v75, v15, v34
	v_fmac_f16_e32 v48, 0x3b9c, v27
	v_add_f16_e32 v85, v23, v7
	v_add_f16_e32 v30, v30, v38
	v_fmac_f16_e32 v23, -0.5, v74
	v_fmac_f16_e32 v62, 0xb8b4, v75
	v_fmac_f16_e32 v48, 0x38b4, v75
	v_sub_f16_e32 v38, v4, v7
	v_sub_f16_e32 v74, v8, v43
	v_fmamk_f16 v86, v75, 0x3b9c, v23
	v_fmac_f16_e32 v62, 0x34f2, v30
	v_fmac_f16_e32 v48, 0x34f2, v30
	;; [unrolled: 1-line block ×3, first 2 shown]
	v_add_f16_e32 v30, v38, v74
	v_add_f16_e32 v38, v24, v26
	v_fmac_f16_e32 v86, 0xb8b4, v27
	v_sub_f16_e32 v74, v25, v24
	v_sub_f16_e32 v75, v28, v26
	v_fmac_f16_e32 v23, 0x38b4, v27
	v_add_f16_e32 v27, v25, v28
	v_fma_f16 v105, -0.5, v38, v0
	v_sub_f16_e32 v38, v10, v6
	v_add_f16_e32 v74, v74, v75
	v_add_f16_e32 v75, v0, v25
	v_fmac_f16_e32 v0, -0.5, v27
	v_sub_f16_e32 v27, v11, v12
	v_fmamk_f16 v106, v38, 0xbb9c, v105
	v_fmac_f16_e32 v105, 0x3b9c, v38
	v_fmac_f16_e32 v86, 0x34f2, v30
	;; [unrolled: 1-line block ×3, first 2 shown]
	v_fmamk_f16 v107, v27, 0x3b9c, v0
	v_fmac_f16_e32 v0, 0xbb9c, v27
	v_fmac_f16_e32 v106, 0xb8b4, v27
	v_fmac_f16_e32 v105, 0x38b4, v27
	v_add_f16_e32 v27, v75, v24
	v_sub_f16_e32 v87, v24, v25
	v_sub_f16_e32 v88, v26, v28
	;; [unrolled: 1-line block ×3, first 2 shown]
	v_pack_b32_f16 v51, v51, v61
	v_add_f16_e32 v30, v27, v26
	v_pack_b32_f16 v61, v36, v37
	v_sub_f16_e32 v36, v10, v11
	v_sub_f16_e32 v37, v6, v12
	;; [unrolled: 1-line block ×3, first 2 shown]
	v_add_f16_e32 v30, v30, v28
	v_add_f16_e32 v28, v11, v12
	;; [unrolled: 1-line block ×4, first 2 shown]
	v_sub_f16_e32 v36, v12, v6
	v_fmac_f16_e32 v107, 0xb8b4, v38
	v_fma_f16 v108, -0.5, v28, v5
	v_add_f16_e32 v28, v10, v6
	v_fmac_f16_e32 v0, 0x38b4, v38
	v_mul_u32_u24_e32 v9, 0x1e0, v9
	v_add_f16_e32 v37, v85, v4
	v_fmamk_f16 v111, v25, 0x3b9c, v108
	v_fma_f16 v109, -0.5, v28, v5
	v_sub_f16_e32 v28, v11, v10
	v_fmac_f16_e32 v108, 0xbb9c, v25
	v_fmac_f16_e32 v106, 0x34f2, v74
	;; [unrolled: 1-line block ×3, first 2 shown]
	v_fmamk_f16 v112, v24, 0xbb9c, v109
	v_fmac_f16_e32 v109, 0x3b9c, v24
	v_add_f16_e32 v28, v28, v36
	v_fmac_f16_e32 v108, 0xb8b4, v24
	v_fmac_f16_e32 v111, 0x34f2, v26
	;; [unrolled: 1-line block ×5, first 2 shown]
	v_lshlrev_b32_e32 v27, 1, v9
	v_fmac_f16_e32 v0, 0x34f2, v87
	v_fmac_f16_e32 v112, 0x34f2, v28
	;; [unrolled: 1-line block ×3, first 2 shown]
	v_add_f16_e32 v36, v37, v8
	v_mul_f16_e32 v25, 0xb8b4, v111
	v_pack_b32_f16 v33, v33, v39
	v_mul_f16_e32 v28, 0xbb9c, v112
	v_mul_f16_e32 v39, 0xbb9c, v109
	v_fmac_f16_e32 v108, 0x34f2, v26
	v_fmac_f16_e32 v105, 0x34f2, v74
	v_mul_u32_u24_e32 v9, 10, v21
	v_add_nc_u32_e32 v74, 0, v27
	v_add_f16_e32 v24, v36, v43
	v_fmac_f16_e32 v25, 0x3a79, v106
	v_fmac_f16_e32 v28, 0x34f2, v107
	;; [unrolled: 1-line block ×3, first 2 shown]
	v_pack_b32_f16 v66, v66, v67
	v_mul_f16_e32 v67, 0xb8b4, v108
	v_lshl_add_u32 v9, v9, 1, v74
	v_add_f16_e32 v26, v24, v30
	v_sub_f16_e32 v36, v24, v30
	v_add_f16_e32 v24, v62, v25
	v_sub_f16_e32 v37, v62, v25
	;; [unrolled: 2-line block ×4, first 2 shown]
	v_mul_i32_i24_e32 v23, 10, v19
	v_pack_b32_f16 v44, v69, v44
	v_fmac_f16_e32 v67, 0xba79, v105
	ds_store_2addr_b32 v9, v51, v66 offset1:1
	ds_store_2addr_b32 v9, v44, v61 offset0:2 offset1:3
	ds_store_b32 v9, v33 offset:16
	v_lshl_add_u32 v110, v23, 1, v74
	v_pack_b32_f16 v23, v71, v72
	v_mul_i32_i24_e32 v33, 10, v20
	v_pack_b32_f16 v44, v65, v70
	v_add_f16_e32 v30, v48, v67
	v_pack_b32_f16 v31, v64, v31
	v_pack_b32_f16 v29, v73, v29
	v_sub_f16_e32 v39, v48, v67
	v_pack_b32_f16 v32, v32, v40
	v_lshl_add_u32 v113, v33, 1, v74
	v_pack_b32_f16 v25, v25, v62
	v_pack_b32_f16 v24, v26, v24
	ds_store_2addr_b32 v110, v44, v23 offset1:1
	ds_store_2addr_b32 v110, v29, v31 offset0:2 offset1:3
	ds_store_b32 v110, v32 offset:16
	v_lshlrev_b32_e32 v29, 1, v21
	v_pack_b32_f16 v26, v37, v38
	v_pack_b32_f16 v33, v30, v36
	;; [unrolled: 1-line block ×3, first 2 shown]
	ds_store_2addr_b32 v113, v24, v25 offset1:1
	ds_store_2addr_b32 v113, v33, v26 offset0:2 offset1:3
	ds_store_b32 v113, v40 offset:16
	v_add_nc_u32_e32 v23, v74, v29
	v_add3_u32 v24, 0, v29, v27
	global_wb scope:SCOPE_SE
	s_wait_dscnt 0x0
	s_barrier_signal -1
	s_barrier_wait -1
	global_inv scope:SCOPE_SE
	ds_load_u16 v61, v23
	ds_load_u16 v85, v24 offset:120
	ds_load_u16 v48, v24 offset:152
	v_lshl_add_u32 v25, v19, 1, v74
	ds_load_u16 v51, v24 offset:392
	v_lshl_add_u32 v26, v20, 1, v74
	ds_load_u16 v86, v24 offset:720
	ds_load_u16 v65, v24 offset:752
	;; [unrolled: 1-line block ×14, first 2 shown]
	ds_load_u16 v40, v26
	ds_load_u16 v44, v25
	ds_load_u16 v72, v24 offset:904
	ds_load_u16 v75, v24 offset:872
	;; [unrolled: 1-line block ×4, first 2 shown]
	v_cmp_gt_u32_e64 s0, 12, v21
	v_lshlrev_b32_e32 v29, 1, v22
                                        ; implicit-def: $vgpr70
                                        ; implicit-def: $vgpr71
	s_delay_alu instid0(VALU_DEP_2)
	s_and_saveexec_b32 s1, s0
	s_cbranch_execz .LBB0_15
; %bb.14:
	s_delay_alu instid0(VALU_DEP_1)
	v_add3_u32 v30, 0, v29, v27
	ds_load_u16 v36, v24 offset:216
	ds_load_u16 v37, v24 offset:336
	;; [unrolled: 1-line block ×6, first 2 shown]
	ds_load_u16 v30, v30
	ds_load_u16 v71, v24 offset:936
.LBB0_15:
	s_wait_alu 0xfffe
	s_or_b32 exec_lo, exec_lo, s1
	v_add_f16_e32 v114, v46, v77
	v_add_f16_e32 v115, v79, v83
	v_sub_f16_e32 v49, v49, v68
	v_add_f16_e32 v117, v77, v84
	v_add_f16_e32 v76, v76, v78
	v_add_f16_e32 v114, v114, v79
	v_fma_f16 v115, -0.5, v115, v46
	v_sub_f16_e32 v68, v77, v79
	v_sub_f16_e32 v116, v84, v83
	;; [unrolled: 1-line block ×3, first 2 shown]
	v_add_f16_e32 v53, v114, v83
	v_fmamk_f16 v114, v49, 0x3b9c, v115
	v_fmac_f16_e32 v46, -0.5, v117
	v_fmac_f16_e32 v115, 0xbb9c, v49
	v_add_f16_e32 v76, v76, v80
	v_add_f16_e32 v68, v68, v116
	v_fmac_f16_e32 v114, 0x38b4, v47
	v_fmamk_f16 v78, v47, 0xbb9c, v46
	v_sub_f16_e32 v77, v79, v77
	v_sub_f16_e32 v79, v83, v84
	v_fmac_f16_e32 v115, 0xb8b4, v47
	v_add_f16_e32 v76, v76, v82
	v_fmac_f16_e32 v78, 0x38b4, v49
	v_fmac_f16_e32 v46, 0x3b9c, v47
	v_add_f16_e32 v47, v77, v79
	v_fmac_f16_e32 v114, 0x34f2, v68
	v_fmac_f16_e32 v115, 0x34f2, v68
	v_add_f16_e32 v68, v76, v81
	v_mul_f16_e32 v76, 0x3b9c, v94
	v_fmac_f16_e32 v78, 0x34f2, v47
	v_add_f16_e32 v80, v58, v60
	v_add_f16_e32 v53, v53, v84
	;; [unrolled: 1-line block ×3, first 2 shown]
	v_fmac_f16_e32 v76, 0x34f2, v96
	v_sub_f16_e32 v35, v35, v50
	v_fma_f16 v80, -0.5, v80, v13
	v_add_f16_e32 v77, v53, v68
	v_sub_f16_e32 v68, v53, v68
	v_add_f16_e32 v81, v78, v76
	v_sub_f16_e32 v76, v78, v76
	v_add_f16_e32 v78, v54, v63
	v_add_f16_e32 v50, v83, v58
	v_fmamk_f16 v53, v35, 0x3b9c, v80
	v_sub_f16_e32 v42, v42, v45
	v_sub_f16_e32 v45, v54, v58
	v_sub_f16_e32 v83, v63, v60
	v_fmac_f16_e32 v13, -0.5, v78
	v_fmac_f16_e32 v80, 0xbb9c, v35
	v_fmac_f16_e32 v53, 0x38b4, v42
	v_add_f16_e32 v52, v52, v56
	v_add_f16_e32 v45, v45, v83
	v_fmamk_f16 v78, v42, 0xbb9c, v13
	v_sub_f16_e32 v54, v58, v54
	v_sub_f16_e32 v56, v60, v63
	v_fmac_f16_e32 v13, 0x3b9c, v42
	v_fmac_f16_e32 v80, 0xb8b4, v42
	;; [unrolled: 1-line block ×3, first 2 shown]
	v_add_f16_e32 v42, v52, v57
	v_fmac_f16_e32 v78, 0x38b4, v35
	v_add_f16_e32 v52, v54, v56
	v_fmac_f16_e32 v13, 0xb8b4, v35
	v_fmac_f16_e32 v80, 0x34f2, v45
	v_mul_f16_e32 v45, 0x3b9c, v101
	v_add_f16_e32 v50, v50, v60
	v_add_f16_e32 v35, v42, v59
	v_fmac_f16_e32 v78, 0x34f2, v52
	v_fmac_f16_e32 v13, 0x34f2, v52
	v_mul_f16_e32 v52, 0x34f2, v102
	v_mul_f16_e32 v54, 0x3a79, v100
	v_fmac_f16_e32 v45, 0x34f2, v103
	v_add_f16_e32 v50, v50, v63
	v_add_f16_e32 v35, v35, v55
	v_fma_f16 v1, v1, 0x3b9c, -v52
	v_fma_f16 v52, v98, 0x38b4, -v54
	v_add_f16_e32 v57, v78, v45
	v_add_f16_e32 v54, v2, v14
	;; [unrolled: 1-line block ×3, first 2 shown]
	v_sub_f16_e32 v7, v7, v43
	v_sub_f16_e32 v43, v78, v45
	v_add_f16_e32 v45, v14, v41
	v_add_f16_e32 v55, v50, v35
	v_sub_f16_e32 v63, v50, v35
	v_add_f16_e32 v35, v54, v15
	v_fma_f16 v54, -0.5, v58, v2
	v_sub_f16_e32 v4, v4, v8
	v_fmac_f16_e32 v2, -0.5, v45
	v_fmac_f16_e32 v46, 0xb8b4, v49
	v_add_f16_e32 v59, v13, v1
	v_sub_f16_e32 v1, v13, v1
	v_add_f16_e32 v13, v35, v34
	v_fmamk_f16 v35, v7, 0x3b9c, v54
	v_sub_f16_e32 v8, v14, v15
	v_sub_f16_e32 v50, v41, v34
	v_fmac_f16_e32 v54, 0xbb9c, v7
	v_fmamk_f16 v45, v4, 0xbb9c, v2
	v_sub_f16_e32 v14, v15, v14
	v_sub_f16_e32 v15, v34, v41
	v_fmac_f16_e32 v2, 0x3b9c, v4
	v_add_f16_e32 v5, v5, v10
	v_mul_f16_e32 v49, 0x3a79, v97
	v_fmac_f16_e32 v46, 0x34f2, v47
	v_mul_f16_e32 v47, 0x34f2, v95
	v_fmac_f16_e32 v35, 0x38b4, v4
	v_add_f16_e32 v8, v8, v50
	v_fmac_f16_e32 v54, 0xb8b4, v4
	v_fmac_f16_e32 v45, 0x38b4, v7
	v_add_f16_e32 v4, v14, v15
	v_fmac_f16_e32 v2, 0xb8b4, v7
	v_add_f16_e32 v5, v5, v11
	v_mul_f16_e32 v79, 0x3a79, v93
	v_fmac_f16_e32 v49, 0x38b4, v92
	v_fma_f16 v3, v3, 0x3b9c, -v47
	v_mul_f16_e32 v42, 0x3a79, v104
	v_fmac_f16_e32 v35, 0x34f2, v8
	v_fmac_f16_e32 v54, 0x34f2, v8
	;; [unrolled: 1-line block ×4, first 2 shown]
	v_add_f16_e32 v4, v5, v12
	v_mul_f16_e32 v5, 0x3a79, v111
	v_mul_f16_e32 v8, 0x34f2, v109
	v_fma_f16 v79, v91, 0x38b4, -v79
	v_mul_f16_e32 v7, 0x3b9c, v107
	v_mul_f16_e32 v10, 0x3a79, v108
	v_add_f16_e32 v47, v114, v49
	v_add_f16_e32 v82, v46, v3
	v_fmac_f16_e32 v42, 0x38b4, v99
	v_fmac_f16_e32 v5, 0x38b4, v106
	v_fma_f16 v0, v0, 0x3b9c, -v8
	v_add_f16_e32 v84, v115, v79
	v_sub_f16_e32 v49, v114, v49
	v_add_f16_e32 v13, v13, v41
	v_add_f16_e32 v4, v4, v6
	v_sub_f16_e32 v3, v46, v3
	v_sub_f16_e32 v46, v115, v79
	v_fmac_f16_e32 v7, 0x34f2, v112
	v_fma_f16 v6, v105, 0x38b4, -v10
	v_add_f16_e32 v56, v53, v42
	v_add_f16_e32 v60, v80, v52
	v_sub_f16_e32 v58, v80, v52
	v_add_f16_e32 v10, v35, v5
	v_add_f16_e32 v12, v2, v0
	v_sub_f16_e32 v52, v35, v5
	v_sub_f16_e32 v35, v2, v0
	v_pack_b32_f16 v0, v81, v82
	v_pack_b32_f16 v2, v77, v47
	v_sub_f16_e32 v42, v53, v42
	v_add_f16_e32 v8, v13, v4
	v_sub_f16_e32 v50, v13, v4
	v_pack_b32_f16 v4, v49, v76
	v_pack_b32_f16 v5, v84, v68
	;; [unrolled: 1-line block ×3, first 2 shown]
	v_add_f16_e32 v11, v45, v7
	v_add_f16_e32 v34, v54, v6
	v_sub_f16_e32 v53, v45, v7
	v_sub_f16_e32 v54, v54, v6
	global_wb scope:SCOPE_SE
	s_wait_dscnt 0x0
	s_barrier_signal -1
	s_barrier_wait -1
	global_inv scope:SCOPE_SE
	ds_store_2addr_b32 v9, v2, v0 offset1:1
	ds_store_2addr_b32 v9, v5, v4 offset0:2 offset1:3
	ds_store_b32 v9, v3 offset:16
	v_pack_b32_f16 v0, v57, v59
	v_pack_b32_f16 v2, v55, v56
	;; [unrolled: 1-line block ×10, first 2 shown]
	ds_store_2addr_b32 v110, v2, v0 offset1:1
	ds_store_2addr_b32 v110, v4, v3 offset0:2 offset1:3
	ds_store_b32 v110, v1 offset:16
	ds_store_2addr_b32 v113, v6, v5 offset1:1
	ds_store_2addr_b32 v113, v8, v7 offset0:2 offset1:3
	ds_store_b32 v113, v9 offset:16
	global_wb scope:SCOPE_SE
	s_wait_dscnt 0x0
	s_barrier_signal -1
	s_barrier_wait -1
	global_inv scope:SCOPE_SE
	ds_load_u16 v41, v23
	ds_load_u16 v92, v24 offset:120
	ds_load_u16 v55, v24 offset:152
	;; [unrolled: 1-line block ×8, first 2 shown]
	ds_load_u16 v42, v26
	ds_load_u16 v94, v24 offset:360
	ds_load_u16 v59, v24 offset:304
	;; [unrolled: 1-line block ×10, first 2 shown]
	ds_load_u16 v43, v25
	ds_load_u16 v81, v24 offset:904
	ds_load_u16 v97, v24 offset:840
	;; [unrolled: 1-line block ×3, first 2 shown]
                                        ; implicit-def: $vgpr77
                                        ; implicit-def: $vgpr78
	s_and_saveexec_b32 s1, s0
	s_cbranch_execz .LBB0_17
; %bb.16:
	v_add3_u32 v0, 0, v29, v27
	ds_load_u16 v50, v24 offset:216
	ds_load_u16 v52, v24 offset:336
	;; [unrolled: 1-line block ×6, first 2 shown]
	ds_load_u16 v34, v0
	ds_load_u16 v78, v24 offset:936
.LBB0_17:
	s_wait_alu 0xfffe
	s_or_b32 exec_lo, exec_lo, s1
	v_dual_mov_b32 v1, 0 :: v_dual_add_nc_u32 v0, -10, v21
	v_cmp_gt_u32_e64 s1, 10, v21
	v_and_b32_e32 v2, 0xff, v19
	v_and_b32_e32 v3, 0xff, v20
	s_wait_alu 0xf1ff
	s_delay_alu instid0(VALU_DEP_3) | instskip(NEXT) | instid1(VALU_DEP_3)
	v_cndmask_b32_e64 v56, v0, v21, s1
	v_mul_lo_u16 v2, 0xcd, v2
	s_delay_alu instid0(VALU_DEP_2) | instskip(NEXT) | instid1(VALU_DEP_2)
	v_mul_i32_i24_e32 v0, 7, v56
	v_lshrrev_b16 v83, 11, v2
	s_delay_alu instid0(VALU_DEP_2) | instskip(NEXT) | instid1(VALU_DEP_2)
	v_lshlrev_b64_e32 v[0:1], 2, v[0:1]
	v_mul_lo_u16 v2, v83, 10
	v_mul_lo_u16 v83, 0x50, v83
	s_delay_alu instid0(VALU_DEP_2) | instskip(NEXT) | instid1(VALU_DEP_4)
	v_sub_nc_u16 v91, v19, v2
	v_add_co_u32 v0, s1, s4, v0
	s_wait_alu 0xf1ff
	v_add_co_ci_u32_e64 v1, s1, s5, v1, s1
	v_cmp_lt_u32_e64 s1, 9, v21
	v_or_b32_e32 v83, v83, v91
	s_clause 0x1
	global_load_b128 v[4:7], v[0:1], off
	global_load_b96 v[99:101], v[0:1], off offset:16
	v_mul_lo_u16 v0, 0xcd, v3
	v_and_b32_e32 v1, 0xff, v22
	s_wait_alu 0xf1ff
	v_cndmask_b32_e64 v112, 0, 0x50, s1
	v_and_b32_e32 v83, 0xff, v83
	v_lshrrev_b16 v84, 11, v0
	v_mul_lo_u16 v0, 0xcd, v1
	s_delay_alu instid0(VALU_DEP_4) | instskip(NEXT) | instid1(VALU_DEP_4)
	v_or_b32_e32 v56, v112, v56
	v_lshlrev_b32_e32 v83, 1, v83
	s_delay_alu instid0(VALU_DEP_4) | instskip(NEXT) | instid1(VALU_DEP_4)
	v_mul_lo_u16 v1, v84, 10
	v_lshrrev_b16 v98, 11, v0
	v_mul_lo_u16 v0, v91, 7
	v_and_b32_e32 v84, 0xffff, v84
	v_lshlrev_b32_e32 v91, 1, v56
	v_sub_nc_u16 v1, v20, v1
	v_mul_lo_u16 v2, v98, 10
	v_and_b32_e32 v0, 0xff, v0
	v_mul_u32_u24_e32 v84, 0x50, v84
	v_and_b32_e32 v56, 0xffff, v98
	v_and_b32_e32 v111, 0xff, v1
	v_sub_nc_u16 v1, v22, v2
	v_lshlrev_b32_e32 v0, 2, v0
	v_add3_u32 v91, 0, v91, v27
	s_delay_alu instid0(VALU_DEP_4) | instskip(NEXT) | instid1(VALU_DEP_4)
	v_mul_u32_u24_e32 v2, 7, v111
	v_and_b32_e32 v49, 0xff, v1
	global_load_b128 v[12:15], v0, s[4:5]
	v_or_b32_e32 v84, v84, v111
	v_lshlrev_b32_e32 v1, 2, v2
	v_mul_u32_u24_e32 v2, 7, v49
	s_clause 0x1
	global_load_b96 v[102:104], v0, s[4:5] offset:16
	global_load_b128 v[8:11], v1, s[4:5]
	v_lshlrev_b32_e32 v98, 1, v84
	v_lshlrev_b32_e32 v108, 2, v2
	s_clause 0x2
	global_load_b96 v[105:107], v1, s[4:5] offset:16
	global_load_b128 v[0:3], v108, s[4:5]
	global_load_b96 v[108:110], v108, s[4:5] offset:16
	v_add3_u32 v84, 0, v83, v27
	v_add3_u32 v83, 0, v98, v27
	global_wb scope:SCOPE_SE
	s_wait_loadcnt_dscnt 0x0
	s_barrier_signal -1
	s_barrier_wait -1
	global_inv scope:SCOPE_SE
	v_lshrrev_b32_e32 v111, 16, v4
	v_lshrrev_b32_e32 v112, 16, v5
	;; [unrolled: 1-line block ×7, first 2 shown]
	v_mul_f16_e32 v117, v92, v111
	v_mul_f16_e32 v111, v85, v111
	;; [unrolled: 1-line block ×13, first 2 shown]
	v_fmac_f16_e32 v117, v85, v4
	v_fma_f16 v92, v92, v4, -v111
	v_fmac_f16_e32 v118, v88, v5
	v_fma_f16 v4, v95, v5, -v112
	v_fmac_f16_e32 v119, v87, v6
	v_fma_f16 v94, v94, v6, -v113
	v_fmac_f16_e32 v120, v33, v7
	v_fmac_f16_e32 v121, v89, v99
	v_fma_f16 v88, v96, v99, -v114
	v_fmac_f16_e32 v122, v86, v100
	v_fma_f16 v87, v93, v100, -v115
	;; [unrolled: 2-line block ×3, first 2 shown]
	v_lshrrev_b32_e32 v90, 16, v12
	v_lshrrev_b32_e32 v93, 16, v13
	;; [unrolled: 1-line block ×20, first 2 shown]
	v_sub_f16_e32 v120, v61, v120
	v_sub_f16_e32 v86, v118, v122
	;; [unrolled: 1-line block ×7, first 2 shown]
	v_mul_f16_e64 v128, v80, v96
	v_mul_f16_e32 v96, v73, v96
	v_mul_f16_e64 v129, v76, v97
	v_mul_f16_e32 v97, v65, v97
	;; [unrolled: 2-line block ×5, first 2 shown]
	v_mul_f16_e64 v133, v81, v114
	v_mul_f16_e64 v134, v55, v90
	v_mul_f16_e32 v114, v72, v114
	v_mul_f16_e32 v90, v48, v90
	v_mul_f16_e64 v135, v58, v93
	v_mul_f16_e32 v93, v66, v93
	v_mul_f16_e64 v136, v57, v95
	;; [unrolled: 2-line block ×3, first 2 shown]
	v_mul_f16_e64 v138, v60, v100
	v_mul_f16_e32 v100, v64, v100
	v_mul_f16_e64 v139, v59, v101
	v_mul_f16_e32 v101, v62, v101
	;; [unrolled: 2-line block ×3, first 2 shown]
	v_mul_f16_e64 v141, v46, v6
	v_mul_f16_e64 v142, v50, v115
	v_mul_f16_e32 v115, v36, v115
	v_mul_f16_e32 v88, v52, v116
	;; [unrolled: 1-line block ×3, first 2 shown]
	v_mul_f16_e64 v143, v53, v124
	v_mul_f16_e32 v124, v38, v124
	v_mul_f16_e64 v144, v54, v125
	v_mul_f16_e32 v125, v39, v125
	v_mul_f16_e64 v145, v77, v126
	v_mul_f16_e64 v146, v78, v127
	v_mul_f16_e32 v127, v71, v127
	v_fma_f16 v147, v61, 2.0, -v120
	v_fma_f16 v118, v118, 2.0, -v86
	;; [unrolled: 1-line block ×6, first 2 shown]
	v_add_f16_e32 v119, v120, v87
	v_add_f16_e32 v89, v121, v89
	v_fmac_f16_e64 v128, v73, v102
	v_fma_f16 v73, v80, v102, -v96
	v_fmac_f16_e64 v129, v65, v103
	v_fma_f16 v65, v76, v103, -v97
	;; [unrolled: 2-line block ×11, first 2 shown]
	v_fmac_f16_e64 v140, v67, v10
	v_fmac_f16_e64 v137, v32, v15
	v_fma_f16 v58, v63, v10, -v111
	v_fmac_f16_e64 v141, v31, v11
	v_mul_f16_e32 v126, v70, v126
	v_fmac_f16_e64 v142, v36, v0
	v_fma_f16 v59, v50, v0, -v115
	v_fmac_f16_e32 v88, v37, v1
	v_fma_f16 v48, v52, v1, -v116
	v_fmac_f16_e64 v143, v38, v2
	v_fma_f16 v53, v53, v2, -v124
	v_fmac_f16_e64 v144, v39, v108
	;; [unrolled: 2-line block ×3, first 2 shown]
	v_fmac_f16_e64 v146, v71, v110
	v_fma_f16 v52, v78, v110, -v127
	v_sub_f16_e64 v54, v147, v118
	v_fma_f16 v67, v120, 2.0, -v119
	v_sub_f16_e32 v0, v117, v92
	v_fma_f16 v60, v121, 2.0, -v89
	v_sub_f16_e64 v63, v44, v137
	v_sub_f16_e64 v10, v135, v129
	v_sub_f16_e32 v38, v12, v65
	v_sub_f16_e64 v64, v134, v128
	v_sub_f16_e32 v65, v55, v73
	;; [unrolled: 2-line block ×3, first 2 shown]
	v_sub_f16_e64 v70, v40, v141
	v_sub_f16_e64 v1, v139, v132
	v_sub_f16_e32 v36, v8, v74
	v_sub_f16_e64 v73, v138, v131
	v_sub_f16_e32 v69, v57, v69
	;; [unrolled: 2-line block ×3, first 2 shown]
	v_sub_f16_e32 v123, v122, v123
	v_fma_f16 v37, v77, v109, -v126
	v_sub_f16_e32 v39, v61, v94
	v_mul_f16_e32 v2, 0x39a8, v89
	v_fmamk_f16 v75, v89, 0x39a8, v119
	v_sub_f16_e64 v74, v142, v144
	v_sub_f16_e32 v76, v59, v14
	v_sub_f16_e64 v77, v143, v146
	v_sub_f16_e32 v78, v53, v52
	v_fma_f16 v79, v147, 2.0, -v54
	v_fma_f16 v80, v117, 2.0, -v0
	v_mul_f16_e32 v14, 0x39a8, v60
	v_fmamk_f16 v81, v60, 0xb9a8, v67
	v_fma_f16 v89, v44, 2.0, -v63
	v_fma_f16 v60, v135, 2.0, -v10
	;; [unrolled: 1-line block ×6, first 2 shown]
	v_add_f16_e32 v93, v63, v38
	v_add_f16_e32 v68, v64, v68
	v_sub_f16_e32 v94, v65, v66
	v_fma_f16 v95, v40, 2.0, -v70
	v_fma_f16 v66, v139, 2.0, -v1
	;; [unrolled: 1-line block ×6, first 2 shown]
	v_add_f16_e32 v97, v70, v36
	v_add_f16_e32 v99, v73, v72
	v_fma_f16 v62, v122, 2.0, -v123
	v_add_f16_e32 v82, v54, v39
	v_sub_f16_e32 v100, v69, v71
	v_fma_f16 v71, v142, 2.0, -v74
	v_fma_f16 v52, v59, 2.0, -v76
	;; [unrolled: 1-line block ×4, first 2 shown]
	v_add_f16_e32 v78, v74, v78
	v_sub_f16_e32 v77, v76, v77
	v_sub_f16_e32 v80, v79, v80
	;; [unrolled: 1-line block ×3, first 2 shown]
	v_fma_f16 v105, v63, 2.0, -v93
	v_sub_f16_e32 v63, v90, v55
	v_sub_f16_e32 v72, v44, v92
	v_fma_f16 v92, v64, 2.0, -v68
	v_fmamk_f16 v107, v68, 0x39a8, v93
	v_sub_f16_e32 v108, v95, v66
	v_fma_f16 v109, v70, 2.0, -v97
	v_sub_f16_e32 v60, v96, v57
	v_sub_f16_e32 v66, v13, v58
	v_fma_f16 v58, v73, 2.0, -v99
	v_fmac_f16_e32 v75, 0x39a8, v123
	v_fmac_f16_e32 v81, 0x39a8, v62
	v_sub_f16_e32 v51, v48, v37
	v_mul_f16_e32 v37, 0x39a8, v62
	v_fma_f16 v102, v54, 2.0, -v82
	v_fma_f16 v106, v65, 2.0, -v94
	v_mul_f16_e32 v65, 0x39a8, v94
	v_fma_f16 v73, v69, 2.0, -v100
	v_mul_f16_e32 v62, 0x39a8, v99
	v_fmamk_f16 v99, v99, 0x39a8, v97
	v_sub_f16_e32 v53, v71, v59
	v_fma_f16 v59, v74, 2.0, -v78
	v_fma_f16 v74, v76, 2.0, -v77
	v_mul_f16_e32 v54, 0x39a8, v78
	v_fma_f16 v76, v79, 2.0, -v80
	v_fma_f16 v78, v89, 2.0, -v104
	;; [unrolled: 1-line block ×3, first 2 shown]
	v_mul_f16_e32 v69, 0x39a8, v92
	v_fmamk_f16 v89, v92, 0xb9a8, v105
	v_fmac_f16_e32 v107, 0x39a8, v94
	v_fma_f16 v92, v95, 2.0, -v108
	v_fma_f16 v94, v96, 2.0, -v60
	v_fmamk_f16 v95, v58, 0xb9a8, v109
	v_fma_f16 v103, v119, 2.0, -v75
	v_mul_f16_e32 v57, 0x39a8, v77
	v_fma_f16 v77, v67, 2.0, -v81
	v_lshrrev_b32_e32 v85, 16, v3
	v_mul_f16_e32 v9, 0x39a8, v123
	v_sub_f16_e64 v50, v88, v145
	v_mul_f16_e32 v40, 0x39a8, v68
	v_mul_f16_e32 v64, 0x39a8, v100
	v_sub_f16_e32 v55, v52, v101
	v_mul_f16_e32 v70, 0x39a8, v106
	v_add_f16_e32 v90, v104, v72
	v_mul_f16_e32 v67, 0x39a8, v58
	v_mul_f16_e32 v68, 0x39a8, v73
	v_add_f16_e32 v96, v108, v66
	v_fmac_f16_e32 v99, 0x39a8, v100
	v_mul_f16_e32 v58, 0x39a8, v59
	v_mul_f16_e32 v59, 0x39a8, v74
	ds_store_b16 v91, v75 offset:140
	ds_store_b16 v91, v103 offset:60
	;; [unrolled: 1-line block ×5, first 2 shown]
	ds_store_b16 v91, v76
	ds_store_b16 v91, v102 offset:40
	ds_store_b16 v91, v77 offset:20
	v_sub_f16_e32 v74, v78, v79
	v_fmac_f16_e32 v89, 0x39a8, v106
	v_sub_f16_e32 v77, v92, v94
	v_fmac_f16_e32 v95, 0x39a8, v73
	v_fma_f16 v76, v93, 2.0, -v107
	v_fma_f16 v75, v104, 2.0, -v90
	;; [unrolled: 1-line block ×8, first 2 shown]
	ds_store_b16 v84, v107 offset:140
	ds_store_b16 v84, v76 offset:60
	;; [unrolled: 1-line block ×5, first 2 shown]
	ds_store_b16 v84, v78
	ds_store_b16 v84, v75 offset:40
	ds_store_b16 v84, v80 offset:20
	ds_store_b16 v83, v81
	ds_store_b16 v83, v82 offset:20
	ds_store_b16 v83, v73 offset:40
	;; [unrolled: 1-line block ×7, first 2 shown]
	s_and_saveexec_b32 s1, s0
	s_cbranch_execz .LBB0_19
; %bb.18:
	v_mul_f16_e32 v73, v35, v85
	v_fma_f16 v74, v88, 2.0, -v50
	v_mul_u32_u24_e32 v76, 0x50, v56
	v_fma_f16 v71, v71, 2.0, -v53
	s_delay_alu instid0(VALU_DEP_4) | instskip(NEXT) | instid1(VALU_DEP_3)
	v_fmac_f16_e32 v73, v28, v3
	v_or_b32_e32 v76, v76, v49
	s_delay_alu instid0(VALU_DEP_2) | instskip(NEXT) | instid1(VALU_DEP_2)
	v_sub_f16_e32 v73, v30, v73
	v_lshlrev_b32_e32 v76, 1, v76
	s_delay_alu instid0(VALU_DEP_2) | instskip(SKIP_1) | instid1(VALU_DEP_3)
	v_fma_f16 v30, v30, 2.0, -v73
	v_add_f16_e32 v75, v73, v51
	v_add3_u32 v76, 0, v76, v27
	s_delay_alu instid0(VALU_DEP_3) | instskip(NEXT) | instid1(VALU_DEP_3)
	v_sub_f16_e32 v74, v30, v74
	v_fma_f16 v73, v73, 2.0, -v75
	v_add_f16_e32 v78, v75, v54
	s_delay_alu instid0(VALU_DEP_3) | instskip(NEXT) | instid1(VALU_DEP_3)
	v_fma_f16 v30, v30, 2.0, -v74
	v_sub_f16_e32 v77, v73, v58
	v_add_f16_e32 v79, v74, v55
	s_delay_alu instid0(VALU_DEP_4) | instskip(NEXT) | instid1(VALU_DEP_4)
	v_add_f16_e32 v78, v57, v78
	v_sub_f16_e32 v71, v30, v71
	s_delay_alu instid0(VALU_DEP_4) | instskip(NEXT) | instid1(VALU_DEP_4)
	v_add_f16_e32 v77, v59, v77
	v_fma_f16 v74, v74, 2.0, -v79
	s_delay_alu instid0(VALU_DEP_4) | instskip(NEXT) | instid1(VALU_DEP_4)
	v_fma_f16 v75, v75, 2.0, -v78
	v_fma_f16 v30, v30, 2.0, -v71
	s_delay_alu instid0(VALU_DEP_4)
	v_fma_f16 v73, v73, 2.0, -v77
	ds_store_b16 v76, v30
	ds_store_b16 v76, v73 offset:20
	ds_store_b16 v76, v74 offset:40
	;; [unrolled: 1-line block ×7, first 2 shown]
.LBB0_19:
	s_wait_alu 0xfffe
	s_or_b32 exec_lo, exec_lo, s1
	v_mul_f16_e32 v30, v33, v98
	v_mul_f16_e32 v5, v32, v5
	;; [unrolled: 1-line block ×3, first 2 shown]
	v_fma_f16 v4, v4, 2.0, -v87
	v_fma_f16 v12, v12, 2.0, -v38
	v_fma_f16 v7, v47, v7, -v30
	v_fma_f16 v5, v45, v15, -v5
	;; [unrolled: 1-line block ×3, first 2 shown]
	v_fma_f16 v11, v44, 2.0, -v72
	v_fma_f16 v30, v61, 2.0, -v39
	v_sub_f16_e32 v7, v41, v7
	v_sub_f16_e32 v5, v43, v5
	v_sub_f16_e32 v6, v42, v6
	v_fma_f16 v8, v8, 2.0, -v36
	v_add3_u32 v46, 0, v29, v27
	v_fma_f16 v15, v41, 2.0, -v7
	v_fma_f16 v32, v43, 2.0, -v5
	v_sub_f16_e32 v31, v7, v86
	v_sub_f16_e32 v10, v5, v10
	v_fma_f16 v33, v42, 2.0, -v6
	v_sub_f16_e32 v4, v15, v4
	v_sub_f16_e32 v12, v32, v12
	v_fma_f16 v7, v7, 2.0, -v31
	v_add_f16_e32 v9, v31, v9
	v_fma_f16 v5, v5, 2.0, -v10
	v_sub_f16_e32 v47, v4, v0
	v_fma_f16 v0, v32, 2.0, -v12
	v_sub_f16_e32 v36, v7, v37
	v_sub_f16_e32 v61, v9, v2
	;; [unrolled: 1-line block ×6, first 2 shown]
	v_fma_f16 v15, v15, 2.0, -v4
	v_sub_f16_e32 v69, v2, v69
	v_fma_f16 v2, v6, 2.0, -v1
	v_fma_f16 v77, v0, 2.0, -v73
	v_sub_f16_e32 v0, v33, v8
	v_fma_f16 v70, v4, 2.0, -v47
	v_fma_f16 v75, v7, 2.0, -v72
	;; [unrolled: 1-line block ×3, first 2 shown]
	v_add_f16_e32 v4, v10, v65
	v_fma_f16 v5, v33, 2.0, -v0
	v_fma_f16 v6, v13, 2.0, -v66
	v_sub_f16_e32 v7, v2, v68
	v_add_f16_e32 v8, v1, v64
	v_sub_f16_e32 v71, v15, v30
	v_sub_f16_e32 v63, v12, v63
	;; [unrolled: 1-line block ×7, first 2 shown]
	v_fma_f16 v74, v15, 2.0, -v71
	v_fma_f16 v76, v31, 2.0, -v61
	;; [unrolled: 1-line block ×8, first 2 shown]
	global_wb scope:SCOPE_SE
	s_wait_dscnt 0x0
	s_barrier_signal -1
	s_barrier_wait -1
	global_inv scope:SCOPE_SE
	ds_load_u16 v8, v24 offset:832
	ds_load_u16 v2, v26
	ds_load_u16 v6, v46
	;; [unrolled: 1-line block ×3, first 2 shown]
	ds_load_u16 v7, v24 offset:128
	ds_load_u16 v42, v24 offset:160
	;; [unrolled: 1-line block ×24, first 2 shown]
	ds_load_u16 v1, v25
	ds_load_u16 v39, v24 offset:928
	global_wb scope:SCOPE_SE
	s_wait_dscnt 0x0
	s_barrier_signal -1
	s_barrier_wait -1
	global_inv scope:SCOPE_SE
	ds_store_b16 v91, v74
	ds_store_b16 v91, v75 offset:20
	ds_store_b16 v91, v70 offset:40
	ds_store_b16 v91, v76 offset:60
	ds_store_b16 v91, v71 offset:80
	ds_store_b16 v91, v72 offset:100
	ds_store_b16 v91, v47 offset:120
	ds_store_b16 v91, v61 offset:140
	ds_store_b16 v84, v77
	ds_store_b16 v84, v78 offset:20
	ds_store_b16 v84, v65 offset:40
	ds_store_b16 v84, v68 offset:60
	ds_store_b16 v84, v73 offset:80
	ds_store_b16 v84, v69 offset:100
	ds_store_b16 v84, v63 offset:120
	ds_store_b16 v84, v64 offset:140
	;; [unrolled: 8-line block ×3, first 2 shown]
	s_and_saveexec_b32 s1, s0
	s_cbranch_execz .LBB0_21
; %bb.20:
	v_mul_f16_e32 v28, v28, v85
	v_mul_u32_u24_e32 v47, 0x50, v56
	s_delay_alu instid0(VALU_DEP_2) | instskip(SKIP_2) | instid1(VALU_DEP_4)
	v_fma_f16 v3, v35, v3, -v28
	v_fma_f16 v28, v48, 2.0, -v51
	v_fma_f16 v48, v52, 2.0, -v55
	v_or_b32_e32 v47, v47, v49
	s_delay_alu instid0(VALU_DEP_4) | instskip(NEXT) | instid1(VALU_DEP_2)
	v_sub_f16_e32 v3, v34, v3
	v_lshlrev_b32_e32 v47, 1, v47
	s_delay_alu instid0(VALU_DEP_2) | instskip(SKIP_1) | instid1(VALU_DEP_3)
	v_fma_f16 v34, v34, 2.0, -v3
	v_sub_f16_e32 v35, v3, v50
	v_add3_u32 v27, 0, v47, v27
	s_delay_alu instid0(VALU_DEP_3) | instskip(NEXT) | instid1(VALU_DEP_3)
	v_sub_f16_e32 v28, v34, v28
	v_fma_f16 v3, v3, 2.0, -v35
	v_add_f16_e32 v50, v35, v57
	s_delay_alu instid0(VALU_DEP_3) | instskip(NEXT) | instid1(VALU_DEP_3)
	v_fma_f16 v34, v34, 2.0, -v28
	v_sub_f16_e32 v49, v3, v59
	v_sub_f16_e32 v51, v28, v53
	s_delay_alu instid0(VALU_DEP_4) | instskip(NEXT) | instid1(VALU_DEP_4)
	v_sub_f16_e32 v50, v50, v54
	v_sub_f16_e32 v48, v34, v48
	s_delay_alu instid0(VALU_DEP_4) | instskip(NEXT) | instid1(VALU_DEP_4)
	v_sub_f16_e32 v49, v49, v58
	v_fma_f16 v28, v28, 2.0, -v51
	s_delay_alu instid0(VALU_DEP_4) | instskip(NEXT) | instid1(VALU_DEP_4)
	v_fma_f16 v35, v35, 2.0, -v50
	v_fma_f16 v34, v34, 2.0, -v48
	s_delay_alu instid0(VALU_DEP_4)
	v_fma_f16 v3, v3, 2.0, -v49
	ds_store_b16 v27, v34
	ds_store_b16 v27, v3 offset:20
	ds_store_b16 v27, v28 offset:40
	;; [unrolled: 1-line block ×7, first 2 shown]
.LBB0_21:
	s_wait_alu 0xfffe
	s_or_b32 exec_lo, exec_lo, s1
	global_wb scope:SCOPE_SE
	s_wait_dscnt 0x0
	s_barrier_signal -1
	s_barrier_wait -1
	global_inv scope:SCOPE_SE
	s_and_saveexec_b32 s0, vcc_lo
	s_cbranch_execz .LBB0_23
; %bb.22:
	v_mul_u32_u24_e32 v3, 5, v21
	v_or_b32_e32 v21, 64, v21
	s_delay_alu instid0(VALU_DEP_2) | instskip(NEXT) | instid1(VALU_DEP_2)
	v_lshlrev_b32_e32 v3, 2, v3
	v_mul_u32_u24_e32 v21, 5, v21
	s_delay_alu instid0(VALU_DEP_1)
	v_lshlrev_b32_e32 v34, 2, v21
	v_mul_i32_i24_e32 v21, 5, v22
	v_mov_b32_e32 v22, 0
	s_clause 0x3
	global_load_b128 v[47:50], v3, s[4:5] offset:280
	global_load_b32 v3, v3, s[4:5] offset:296
	global_load_b128 v[51:54], v34, s[4:5] offset:280
	global_load_b32 v34, v34, s[4:5] offset:296
	v_lshlrev_b64_e32 v[27:28], 2, v[21:22]
	v_mul_i32_i24_e32 v21, 5, v20
	s_delay_alu instid0(VALU_DEP_1) | instskip(NEXT) | instid1(VALU_DEP_3)
	v_lshlrev_b64_e32 v[20:21], 2, v[21:22]
	v_add_co_u32 v27, vcc_lo, s4, v27
	s_wait_alu 0xfffd
	s_delay_alu instid0(VALU_DEP_4)
	v_add_co_ci_u32_e32 v28, vcc_lo, s5, v28, vcc_lo
	s_clause 0x1
	global_load_b128 v[55:58], v[27:28], off offset:280
	global_load_b32 v35, v[27:28], off offset:296
	v_add_co_u32 v20, vcc_lo, s4, v20
	s_wait_alu 0xfffd
	v_add_co_ci_u32_e32 v21, vcc_lo, s5, v21, vcc_lo
	s_clause 0x1
	global_load_b128 v[59:62], v[20:21], off offset:280
	global_load_b32 v63, v[20:21], off offset:296
	v_mul_i32_i24_e32 v21, 5, v19
	s_delay_alu instid0(VALU_DEP_1) | instskip(NEXT) | instid1(VALU_DEP_1)
	v_lshlrev_b64_e32 v[19:20], 2, v[21:22]
	v_add_co_u32 v27, vcc_lo, s4, v19
	s_wait_alu 0xfffd
	s_delay_alu instid0(VALU_DEP_2)
	v_add_co_ci_u32_e32 v28, vcc_lo, s5, v20, vcc_lo
	s_clause 0x1
	global_load_b128 v[19:22], v[27:28], off offset:280
	global_load_b32 v27, v[27:28], off offset:296
	ds_load_u16 v28, v24 offset:160
	ds_load_u16 v64, v24 offset:608
	ds_load_u16 v46, v46
	ds_load_u16 v26, v26
	;; [unrolled: 1-line block ×3, first 2 shown]
	ds_load_u16 v65, v24 offset:928
	ds_load_u16 v66, v24 offset:896
	;; [unrolled: 1-line block ×24, first 2 shown]
	ds_load_u16 v23, v23
	s_wait_loadcnt 0x9
	v_lshrrev_b32_e32 v88, 16, v47
	v_lshrrev_b32_e32 v89, 16, v48
	;; [unrolled: 1-line block ×4, first 2 shown]
	v_mul_f16_e32 v92, v42, v47
	v_mul_f16_e32 v93, v44, v49
	s_wait_loadcnt 0x8
	v_lshrrev_b32_e32 v94, 16, v3
	v_mul_f16_e32 v95, v45, v3
	s_wait_loadcnt 0x7
	v_lshrrev_b32_e32 v96, 16, v51
	v_lshrrev_b32_e32 v97, 16, v52
	;; [unrolled: 1-line block ×4, first 2 shown]
	s_wait_loadcnt 0x6
	v_lshrrev_b32_e32 v100, 16, v34
	v_mul_f16_e32 v101, v41, v89
	v_mul_f16_e32 v102, v43, v91
	s_wait_dscnt 0xd
	v_mul_f16_e32 v89, v76, v89
	s_wait_dscnt 0x6
	v_mul_f16_e32 v91, v83, v91
	v_fmac_f16_e32 v92, v28, v88
	v_fmac_f16_e32 v93, v71, v90
	;; [unrolled: 1-line block ×3, first 2 shown]
	v_mul_f16_e32 v44, v44, v90
	v_mul_f16_e32 v45, v45, v94
	;; [unrolled: 1-line block ×3, first 2 shown]
	s_wait_loadcnt 0x5
	v_lshrrev_b32_e32 v88, 16, v55
	v_lshrrev_b32_e32 v90, 16, v56
	;; [unrolled: 1-line block ×4, first 2 shown]
	v_mul_f16_e32 v104, v32, v55
	s_wait_loadcnt 0x4
	v_lshrrev_b32_e32 v106, 16, v35
	v_mul_f16_e32 v105, v40, v57
	v_mul_f16_e32 v107, v36, v97
	;; [unrolled: 1-line block ×4, first 2 shown]
	s_wait_dscnt 0x5
	v_mul_f16_e32 v109, v96, v84
	v_mul_f16_e32 v110, v98, v64
	;; [unrolled: 1-line block ×5, first 2 shown]
	v_fma_f16 v76, v76, v48, -v101
	v_fma_f16 v83, v83, v50, -v102
	v_fmac_f16_e32 v89, v41, v48
	v_fmac_f16_e32 v91, v43, v50
	v_fma_f16 v43, v71, v49, -v44
	v_fma_f16 v3, v78, v3, -v45
	;; [unrolled: 1-line block ×3, first 2 shown]
	v_mul_f16_e32 v44, v29, v90
	v_mul_f16_e32 v47, v73, v90
	;; [unrolled: 1-line block ×3, first 2 shown]
	s_wait_dscnt 0x4
	v_fmac_f16_e32 v104, v85, v88
	v_mul_f16_e32 v49, v106, v66
	v_mul_f16_e32 v40, v40, v94
	;; [unrolled: 1-line block ×4, first 2 shown]
	s_wait_loadcnt 0x3
	v_lshrrev_b32_e32 v71, 16, v59
	v_lshrrev_b32_e32 v78, 16, v60
	;; [unrolled: 1-line block ×4, first 2 shown]
	s_wait_loadcnt 0x2
	v_lshrrev_b32_e32 v102, 16, v63
	v_mul_f16_e32 v99, v79, v99
	v_mul_f16_e32 v96, v33, v96
	;; [unrolled: 1-line block ×3, first 2 shown]
	v_fmac_f16_e32 v105, v68, v94
	v_mul_f16_e32 v94, v13, v59
	v_mul_f16_e32 v101, v14, v61
	;; [unrolled: 1-line block ×3, first 2 shown]
	v_fma_f16 v72, v52, v72, -v107
	v_fma_f16 v79, v54, v79, -v108
	v_fmac_f16_e32 v97, v36, v52
	v_fmac_f16_e32 v109, v33, v51
	;; [unrolled: 1-line block ×3, first 2 shown]
	v_fma_f16 v33, v53, v64, -v98
	v_fma_f16 v34, v34, v65, -v100
	;; [unrolled: 1-line block ×3, first 2 shown]
	v_fmac_f16_e32 v47, v29, v56
	v_fmac_f16_e32 v48, v30, v58
	;; [unrolled: 1-line block ×3, first 2 shown]
	v_fma_f16 v29, v68, v57, -v40
	v_fma_f16 v30, v35, v66, -v50
	;; [unrolled: 1-line block ×3, first 2 shown]
	v_mul_f16_e32 v35, v11, v78
	v_mul_f16_e32 v50, v74, v78
	;; [unrolled: 1-line block ×6, first 2 shown]
	s_wait_loadcnt 0x1
	v_lshrrev_b32_e32 v55, 16, v21
	v_lshrrev_b32_e32 v56, 16, v22
	s_wait_loadcnt 0x0
	v_lshrrev_b32_e32 v64, 16, v27
	v_fmac_f16_e32 v110, v37, v53
	v_fma_f16 v36, v51, v84, -v96
	v_fma_f16 v45, v58, v80, -v45
	v_mul_f16_e32 v40, v12, v90
	v_fmac_f16_e32 v103, v67, v102
	v_lshrrev_b32_e32 v53, 16, v19
	v_mul_f16_e32 v58, v10, v21
	v_mul_f16_e32 v65, v8, v27
	v_add_f16_e32 v66, v72, v79
	v_add_f16_e32 v78, v33, v34
	v_sub_f16_e32 v98, v47, v48
	v_sub_f16_e32 v102, v29, v30
	v_add_f16_e32 v106, v29, v30
	v_add_f16_e32 v29, v31, v29
	;; [unrolled: 1-line block ×4, first 2 shown]
	v_fma_f16 v35, v74, v60, -v35
	v_fmac_f16_e32 v50, v11, v60
	v_fmac_f16_e32 v52, v12, v62
	v_fma_f16 v12, v69, v61, -v14
	v_fma_f16 v14, v67, v63, -v15
	s_wait_dscnt 0x3
	v_fma_f16 v13, v86, v59, -v13
	v_mul_f16_e32 v60, v5, v56
	v_mul_f16_e32 v56, v82, v56
	;; [unrolled: 1-line block ×4, first 2 shown]
	v_fmac_f16_e32 v99, v38, v54
	v_add_f16_e32 v32, v104, v105
	v_fmac_f16_e32 v94, v86, v71
	v_fmac_f16_e32 v101, v69, v88
	v_lshrrev_b32_e32 v54, 16, v20
	v_mul_f16_e32 v57, v9, v19
	v_add_f16_e32 v71, v110, v111
	v_sub_f16_e32 v73, v33, v34
	v_sub_f16_e32 v80, v110, v111
	s_wait_dscnt 0x1
	v_add_f16_e32 v84, v24, v72
	v_add_f16_e32 v33, v36, v33
	;; [unrolled: 1-line block ×3, first 2 shown]
	v_sub_f16_e32 v105, v105, v49
	v_fmac_f16_e32 v65, v77, v64
	v_mul_f16_e32 v9, v9, v53
	v_fma_f16 v24, -0.5, v66, v24
	v_fma_f16 v36, -0.5, v78, v36
	;; [unrolled: 1-line block ×3, first 2 shown]
	v_add_f16_e32 v29, v29, v30
	v_add_f16_e32 v30, v47, v48
	v_sub_f16_e32 v48, v50, v52
	v_sub_f16_e32 v64, v12, v14
	v_add_f16_e32 v66, v12, v14
	v_add_f16_e32 v12, v13, v12
	;; [unrolled: 1-line block ×4, first 2 shown]
	v_fmac_f16_e32 v56, v5, v22
	v_fma_f16 v5, v70, v21, -v10
	v_fma_f16 v8, v77, v27, -v8
	v_add_f16_e32 v85, v97, v99
	v_add_f16_e32 v107, v46, v44
	v_fma_f16 v40, v81, v62, -v40
	v_add_f16_e32 v11, v101, v103
	v_mul_f16_e32 v59, v4, v54
	v_mul_f16_e32 v54, v75, v54
	v_fmac_f16_e32 v57, v87, v53
	v_fmac_f16_e32 v58, v70, v55
	v_fma_f16 v53, -0.5, v71, v109
	v_fma_f16 v63, -0.5, v100, v104
	v_fma_f16 v60, v82, v22, -v60
	v_fma_f16 v9, v87, v19, -v9
	v_fmamk_f16 v22, v80, 0xbaee, v36
	v_fmac_f16_e32 v36, 0x3aee, v80
	v_fmamk_f16 v71, v105, 0xbaee, v31
	v_fmac_f16_e32 v31, 0x3aee, v105
	v_add_f16_e32 v12, v12, v14
	v_add_f16_e32 v14, v50, v52
	;; [unrolled: 1-line block ×3, first 2 shown]
	v_sub_f16_e32 v68, v97, v99
	v_sub_f16_e32 v72, v72, v79
	v_add_f16_e32 v88, v7, v97
	v_add_f16_e32 v97, v44, v45
	v_sub_f16_e32 v44, v44, v45
	v_add_f16_e32 v32, v32, v49
	v_sub_f16_e32 v15, v101, v103
	v_add_f16_e32 v49, v94, v101
	v_fma_f16 v7, -0.5, v85, v7
	v_add_f16_e32 v45, v107, v45
	v_fma_f16 v6, -0.5, v108, v6
	;; [unrolled: 2-line block ×3, first 2 shown]
	v_add_f16_e32 v67, v26, v35
	v_fma_f16 v59, v75, v20, -v59
	v_fmac_f16_e32 v54, v4, v20
	v_add_f16_e32 v4, v58, v65
	v_sub_f16_e32 v10, v58, v65
	v_fmamk_f16 v21, v73, 0x3aee, v53
	v_fmac_f16_e32 v53, 0xbaee, v73
	v_fmamk_f16 v70, v102, 0x3aee, v63
	v_fmac_f16_e32 v63, 0xbaee, v102
	v_fma_f16 v13, -0.5, v66, v13
	v_fma_f16 v2, -0.5, v69, v2
	v_sub_f16_e32 v50, v5, v8
	v_add_f16_e32 v5, v9, v5
	v_mul_f16_e32 v66, 0.5, v36
	v_mul_f16_e32 v36, 0xbaee, v36
	v_mul_f16_e32 v69, 0.5, v31
	v_mul_f16_e32 v31, 0xbaee, v31
	v_fma_f16 v9, -0.5, v52, v9
	v_sub_f16_e32 v35, v35, v40
	v_add_f16_e32 v49, v49, v103
	v_add_f16_e32 v19, v57, v58
	v_fmamk_f16 v58, v72, 0x3aee, v7
	v_fmac_f16_e32 v7, 0xbaee, v72
	v_sub_f16_e32 v72, v45, v29
	v_fmamk_f16 v73, v44, 0x3aee, v6
	v_fmac_f16_e32 v6, 0xbaee, v44
	v_sub_f16_e32 v44, v30, v32
	v_add_f16_e32 v29, v45, v29
	v_add_f16_e32 v30, v30, v32
	v_fma_f16 v26, -0.5, v47, v26
	v_fmamk_f16 v32, v64, 0x3aee, v11
	v_fmac_f16_e32 v11, 0xbaee, v64
	v_add_f16_e32 v40, v67, v40
	v_add_f16_e32 v45, v59, v60
	v_fma_f16 v4, -0.5, v4, v57
	v_add_f16_e32 v64, v54, v56
	v_fmamk_f16 v75, v15, 0xbaee, v13
	v_fmac_f16_e32 v13, 0x3aee, v15
	v_fmac_f16_e32 v66, 0x3aee, v53
	v_fmac_f16_e32 v36, 0.5, v53
	v_fmac_f16_e32 v31, 0.5, v63
	v_fmamk_f16 v53, v10, 0xbaee, v9
	v_fmac_f16_e32 v9, 0x3aee, v10
	v_add_f16_e32 v51, v43, v3
	v_sub_f16_e32 v47, v54, v56
	v_add_f16_e32 v57, v25, v59
	v_sub_f16_e32 v59, v59, v60
	v_add_f16_e32 v54, v1, v54
	v_fmamk_f16 v74, v48, 0xbaee, v26
	v_fmac_f16_e32 v26, 0x3aee, v48
	v_sub_f16_e32 v15, v40, v12
	v_fmamk_f16 v48, v35, 0x3aee, v2
	v_fmac_f16_e32 v2, 0xbaee, v35
	v_sub_f16_e32 v35, v14, v49
	v_add_f16_e32 v12, v40, v12
	v_add_f16_e32 v14, v14, v49
	v_fma_f16 v25, -0.5, v45, v25
	v_fmamk_f16 v40, v50, 0x3aee, v4
	v_fmac_f16_e32 v4, 0xbaee, v50
	v_fma_f16 v1, -0.5, v64, v1
	v_mul_f16_e32 v49, 0.5, v13
	v_sub_f16_e32 v64, v6, v31
	v_add_f16_e32 v6, v6, v31
	v_mul_f16_e32 v31, 0.5, v9
	v_mul_f16_e32 v9, 0xbaee, v9
	v_add_f16_e32 v90, v109, v110
	v_add_f16_e32 v41, v93, v95
	v_sub_f16_e32 v42, v93, v95
	v_fma_f16 v51, -0.5, v51, v28
	v_fmamk_f16 v20, v68, 0xbaee, v24
	v_fmac_f16_e32 v24, 0x3aee, v68
	v_add_f16_e32 v19, v19, v65
	v_mul_f16_e32 v65, -0.5, v22
	v_mul_f16_e32 v22, 0xbaee, v22
	v_fmamk_f16 v52, v47, 0xbaee, v25
	v_fmac_f16_e32 v25, 0x3aee, v47
	v_fmamk_f16 v47, v59, 0x3aee, v1
	v_fmac_f16_e32 v1, 0xbaee, v59
	v_fmac_f16_e32 v49, 0x3aee, v11
	v_fmac_f16_e32 v9, 0.5, v4
	v_add_f16_e32 v37, v76, v83
	v_add_f16_e32 v33, v33, v34
	;; [unrolled: 1-line block ×4, first 2 shown]
	v_fma_f16 v46, -0.5, v97, v46
	v_mul_f16_e32 v13, 0xbaee, v13
	v_fma_f16 v39, -0.5, v41, v92
	v_sub_f16_e32 v41, v43, v3
	v_fmamk_f16 v62, v42, 0xbaee, v51
	v_add_f16_e32 v45, v57, v60
	v_fmac_f16_e32 v65, 0x3aee, v21
	v_fmac_f16_e32 v22, -0.5, v21
	v_mul_f16_e32 v21, -0.5, v75
	v_mul_f16_e32 v50, 0xbaee, v75
	v_sub_f16_e32 v57, v24, v66
	v_add_f16_e32 v24, v24, v66
	v_sub_f16_e32 v66, v26, v49
	v_add_f16_e32 v26, v26, v49
	;; [unrolled: 2-line block ×3, first 2 shown]
	v_fmac_f16_e32 v51, 0x3aee, v42
	v_add_f16_e32 v1, v89, v91
	v_add_f16_e32 v28, v28, v43
	v_sub_f16_e32 v38, v89, v91
	s_wait_dscnt 0x0
	v_fma_f16 v37, -0.5, v37, v23
	v_sub_f16_e32 v68, v34, v61
	v_add_f16_e32 v34, v34, v61
	v_fmamk_f16 v61, v98, 0xbaee, v46
	v_fmac_f16_e32 v46, 0x3aee, v98
	v_add_f16_e32 v5, v5, v8
	v_fmac_f16_e32 v69, 0x3aee, v63
	v_fmac_f16_e32 v13, 0.5, v11
	v_fmac_f16_e32 v31, 0x3aee, v4
	v_fmamk_f16 v96, v41, 0x3aee, v39
	v_mul_f16_e32 v67, -0.5, v71
	v_fmac_f16_e32 v21, 0x3aee, v32
	v_fmac_f16_e32 v50, -0.5, v32
	v_mul_f16_e32 v32, 0xbaee, v53
	v_fmac_f16_e32 v39, 0xbaee, v41
	v_add_f16_e32 v23, v23, v76
	v_fma_f16 v1, -0.5, v1, v0
	v_sub_f16_e32 v41, v76, v83
	v_add_f16_e32 v3, v28, v3
	v_mul_f16_e32 v28, 0xbaee, v62
	v_mul_f16_e32 v43, 0xbaee, v51
	v_sub_f16_e32 v10, v45, v5
	v_sub_f16_e32 v59, v58, v22
	v_add_f16_e32 v22, v58, v22
	v_sub_f16_e32 v58, v46, v69
	v_add_f16_e32 v46, v46, v69
	;; [unrolled: 2-line block ×4, first 2 shown]
	v_add_f16_e32 v5, v45, v5
	v_fmamk_f16 v31, v38, 0xbaee, v37
	v_fmac_f16_e32 v37, 0x3aee, v38
	v_mul_f16_e32 v38, 0.5, v51
	v_add_f16_e32 v0, v0, v89
	v_add_f16_e32 v45, v92, v93
	v_fmac_f16_e32 v67, 0x3aee, v70
	v_mul_f16_e32 v11, -0.5, v53
	v_fmac_f16_e32 v32, -0.5, v40
	v_add_f16_e32 v23, v23, v83
	v_fmamk_f16 v42, v41, 0x3aee, v1
	v_fmac_f16_e32 v28, -0.5, v96
	v_fmac_f16_e32 v1, 0xbaee, v41
	v_fmac_f16_e32 v43, 0.5, v39
	v_add_f16_e32 v55, v84, v79
	v_add_f16_e32 v8, v54, v56
	v_mul_f16_e32 v71, 0xbaee, v71
	v_fmac_f16_e32 v38, 0x3aee, v39
	v_add_f16_e32 v0, v0, v91
	v_add_f16_e32 v39, v45, v95
	v_sub_f16_e32 v60, v7, v36
	v_add_f16_e32 v7, v7, v36
	v_sub_f16_e32 v36, v61, v67
	;; [unrolled: 2-line block ×3, first 2 shown]
	v_add_f16_e32 v48, v48, v50
	v_fmac_f16_e32 v11, 0x3aee, v40
	v_sub_f16_e32 v40, v47, v32
	v_add_f16_e32 v32, v47, v32
	v_sub_f16_e32 v45, v23, v3
	v_sub_f16_e32 v47, v42, v28
	;; [unrolled: 1-line block ×3, first 2 shown]
	v_add_f16_e32 v3, v23, v3
	v_add_f16_e32 v23, v42, v28
	;; [unrolled: 1-line block ×3, first 2 shown]
	v_add_co_u32 v1, vcc_lo, s8, v16
	v_sub_f16_e32 v27, v55, v33
	v_add_f16_e32 v33, v55, v33
	v_mul_f16_e32 v55, -0.5, v62
	v_sub_f16_e32 v54, v8, v19
	v_add_f16_e32 v8, v8, v19
	s_wait_alu 0xfffd
	v_add_co_ci_u32_e32 v16, vcc_lo, s9, v17, vcc_lo
	v_fmac_f16_e32 v71, -0.5, v70
	v_add_f16_e32 v17, v0, v39
	v_sub_f16_e32 v51, v0, v39
	v_add_co_u32 v0, vcc_lo, v1, v18
	v_sub_f16_e32 v4, v52, v11
	v_add_f16_e32 v11, v52, v11
	v_fmac_f16_e32 v55, 0x3aee, v96
	s_wait_alu 0xfffd
	v_add_co_ci_u32_e32 v1, vcc_lo, 0, v16, vcc_lo
	v_pack_b32_f16 v5, v8, v5
	v_pack_b32_f16 v8, v9, v25
	v_sub_f16_e32 v53, v74, v21
	v_add_f16_e32 v21, v74, v21
	v_pack_b32_f16 v2, v2, v26
	v_sub_f16_e32 v56, v20, v65
	v_add_f16_e32 v20, v20, v65
	v_add_f16_e32 v65, v73, v71
	v_pack_b32_f16 v3, v17, v3
	v_sub_f16_e32 v41, v37, v38
	v_add_f16_e32 v37, v37, v38
	v_pack_b32_f16 v12, v14, v12
	v_sub_f16_e32 v19, v31, v55
	v_pack_b32_f16 v9, v32, v11
	s_clause 0x1
	global_store_b32 v[0:1], v8, off offset:384
	global_store_b32 v[0:1], v2, off offset:448
	v_pack_b32_f16 v8, v35, v15
	v_pack_b32_f16 v15, v30, v29
	;; [unrolled: 1-line block ×3, first 2 shown]
	v_add_f16_e32 v31, v31, v55
	v_pack_b32_f16 v2, v48, v21
	s_clause 0x3
	global_store_b32 v[0:1], v3, off
	global_store_b32 v[0:1], v5, off offset:64
	global_store_b32 v[0:1], v12, off offset:128
	;; [unrolled: 1-line block ×3, first 2 shown]
	v_pack_b32_f16 v3, v65, v61
	v_sub_f16_e32 v63, v73, v71
	v_pack_b32_f16 v10, v54, v10
	v_pack_b32_f16 v16, v28, v37
	;; [unrolled: 1-line block ×5, first 2 shown]
	global_store_b32 v[0:1], v6, off offset:512
	v_pack_b32_f16 v6, v22, v20
	s_clause 0x2
	global_store_b32 v[0:1], v9, off offset:704
	global_store_b32 v[0:1], v2, off offset:768
	;; [unrolled: 1-line block ×3, first 2 shown]
	v_pack_b32_f16 v2, v44, v72
	v_pack_b32_f16 v17, v23, v31
	;; [unrolled: 1-line block ×10, first 2 shown]
	s_clause 0x5
	global_store_b32 v[0:1], v10, off offset:1024
	global_store_b32 v[0:1], v8, off offset:1088
	;; [unrolled: 1-line block ×6, first 2 shown]
	v_pack_b32_f16 v2, v63, v36
	v_pack_b32_f16 v3, v60, v57
	s_clause 0x8
	global_store_b32 v[0:1], v16, off offset:320
	global_store_b32 v[0:1], v21, off offset:256
	;; [unrolled: 1-line block ×9, first 2 shown]
	v_pack_b32_f16 v3, v59, v56
	s_clause 0x4
	global_store_b32 v[0:1], v19, off offset:1600
	global_store_b32 v[0:1], v4, off offset:1664
	;; [unrolled: 1-line block ×5, first 2 shown]
.LBB0_23:
	s_nop 0
	s_sendmsg sendmsg(MSG_DEALLOC_VGPRS)
	s_endpgm
	.section	.rodata,"a",@progbits
	.p2align	6, 0x0
	.amdhsa_kernel fft_rtc_back_len480_factors_10_8_6_wgs_64_tpt_16_halfLds_half_ip_CI_unitstride_sbrr_dirReg
		.amdhsa_group_segment_fixed_size 0
		.amdhsa_private_segment_fixed_size 0
		.amdhsa_kernarg_size 88
		.amdhsa_user_sgpr_count 2
		.amdhsa_user_sgpr_dispatch_ptr 0
		.amdhsa_user_sgpr_queue_ptr 0
		.amdhsa_user_sgpr_kernarg_segment_ptr 1
		.amdhsa_user_sgpr_dispatch_id 0
		.amdhsa_user_sgpr_private_segment_size 0
		.amdhsa_wavefront_size32 1
		.amdhsa_uses_dynamic_stack 0
		.amdhsa_enable_private_segment 0
		.amdhsa_system_sgpr_workgroup_id_x 1
		.amdhsa_system_sgpr_workgroup_id_y 0
		.amdhsa_system_sgpr_workgroup_id_z 0
		.amdhsa_system_sgpr_workgroup_info 0
		.amdhsa_system_vgpr_workitem_id 0
		.amdhsa_next_free_vgpr 148
		.amdhsa_next_free_sgpr 32
		.amdhsa_reserve_vcc 1
		.amdhsa_float_round_mode_32 0
		.amdhsa_float_round_mode_16_64 0
		.amdhsa_float_denorm_mode_32 3
		.amdhsa_float_denorm_mode_16_64 3
		.amdhsa_fp16_overflow 0
		.amdhsa_workgroup_processor_mode 1
		.amdhsa_memory_ordered 1
		.amdhsa_forward_progress 0
		.amdhsa_round_robin_scheduling 0
		.amdhsa_exception_fp_ieee_invalid_op 0
		.amdhsa_exception_fp_denorm_src 0
		.amdhsa_exception_fp_ieee_div_zero 0
		.amdhsa_exception_fp_ieee_overflow 0
		.amdhsa_exception_fp_ieee_underflow 0
		.amdhsa_exception_fp_ieee_inexact 0
		.amdhsa_exception_int_div_zero 0
	.end_amdhsa_kernel
	.text
.Lfunc_end0:
	.size	fft_rtc_back_len480_factors_10_8_6_wgs_64_tpt_16_halfLds_half_ip_CI_unitstride_sbrr_dirReg, .Lfunc_end0-fft_rtc_back_len480_factors_10_8_6_wgs_64_tpt_16_halfLds_half_ip_CI_unitstride_sbrr_dirReg
                                        ; -- End function
	.section	.AMDGPU.csdata,"",@progbits
; Kernel info:
; codeLenInByte = 12684
; NumSgprs: 34
; NumVgprs: 148
; ScratchSize: 0
; MemoryBound: 0
; FloatMode: 240
; IeeeMode: 1
; LDSByteSize: 0 bytes/workgroup (compile time only)
; SGPRBlocks: 4
; VGPRBlocks: 18
; NumSGPRsForWavesPerEU: 34
; NumVGPRsForWavesPerEU: 148
; Occupancy: 9
; WaveLimiterHint : 1
; COMPUTE_PGM_RSRC2:SCRATCH_EN: 0
; COMPUTE_PGM_RSRC2:USER_SGPR: 2
; COMPUTE_PGM_RSRC2:TRAP_HANDLER: 0
; COMPUTE_PGM_RSRC2:TGID_X_EN: 1
; COMPUTE_PGM_RSRC2:TGID_Y_EN: 0
; COMPUTE_PGM_RSRC2:TGID_Z_EN: 0
; COMPUTE_PGM_RSRC2:TIDIG_COMP_CNT: 0
	.text
	.p2alignl 7, 3214868480
	.fill 96, 4, 3214868480
	.type	__hip_cuid_db6516078da8c652,@object ; @__hip_cuid_db6516078da8c652
	.section	.bss,"aw",@nobits
	.globl	__hip_cuid_db6516078da8c652
__hip_cuid_db6516078da8c652:
	.byte	0                               ; 0x0
	.size	__hip_cuid_db6516078da8c652, 1

	.ident	"AMD clang version 19.0.0git (https://github.com/RadeonOpenCompute/llvm-project roc-6.4.0 25133 c7fe45cf4b819c5991fe208aaa96edf142730f1d)"
	.section	".note.GNU-stack","",@progbits
	.addrsig
	.addrsig_sym __hip_cuid_db6516078da8c652
	.amdgpu_metadata
---
amdhsa.kernels:
  - .args:
      - .actual_access:  read_only
        .address_space:  global
        .offset:         0
        .size:           8
        .value_kind:     global_buffer
      - .offset:         8
        .size:           8
        .value_kind:     by_value
      - .actual_access:  read_only
        .address_space:  global
        .offset:         16
        .size:           8
        .value_kind:     global_buffer
      - .actual_access:  read_only
        .address_space:  global
        .offset:         24
        .size:           8
        .value_kind:     global_buffer
      - .offset:         32
        .size:           8
        .value_kind:     by_value
      - .actual_access:  read_only
        .address_space:  global
        .offset:         40
        .size:           8
        .value_kind:     global_buffer
      - .actual_access:  read_only
        .address_space:  global
        .offset:         48
        .size:           8
        .value_kind:     global_buffer
      - .offset:         56
        .size:           4
        .value_kind:     by_value
      - .actual_access:  read_only
        .address_space:  global
        .offset:         64
        .size:           8
        .value_kind:     global_buffer
      - .actual_access:  read_only
        .address_space:  global
        .offset:         72
        .size:           8
        .value_kind:     global_buffer
      - .address_space:  global
        .offset:         80
        .size:           8
        .value_kind:     global_buffer
    .group_segment_fixed_size: 0
    .kernarg_segment_align: 8
    .kernarg_segment_size: 88
    .language:       OpenCL C
    .language_version:
      - 2
      - 0
    .max_flat_workgroup_size: 64
    .name:           fft_rtc_back_len480_factors_10_8_6_wgs_64_tpt_16_halfLds_half_ip_CI_unitstride_sbrr_dirReg
    .private_segment_fixed_size: 0
    .sgpr_count:     34
    .sgpr_spill_count: 0
    .symbol:         fft_rtc_back_len480_factors_10_8_6_wgs_64_tpt_16_halfLds_half_ip_CI_unitstride_sbrr_dirReg.kd
    .uniform_work_group_size: 1
    .uses_dynamic_stack: false
    .vgpr_count:     148
    .vgpr_spill_count: 0
    .wavefront_size: 32
    .workgroup_processor_mode: 1
amdhsa.target:   amdgcn-amd-amdhsa--gfx1201
amdhsa.version:
  - 1
  - 2
...

	.end_amdgpu_metadata
